;; amdgpu-corpus repo=ROCm/rocFFT kind=compiled arch=gfx1201 opt=O3
	.text
	.amdgcn_target "amdgcn-amd-amdhsa--gfx1201"
	.amdhsa_code_object_version 6
	.protected	fft_rtc_fwd_len1400_factors_2_2_2_5_7_5_wgs_56_tpt_56_halfLds_half_ip_CI_unitstride_sbrr_R2C_dirReg ; -- Begin function fft_rtc_fwd_len1400_factors_2_2_2_5_7_5_wgs_56_tpt_56_halfLds_half_ip_CI_unitstride_sbrr_R2C_dirReg
	.globl	fft_rtc_fwd_len1400_factors_2_2_2_5_7_5_wgs_56_tpt_56_halfLds_half_ip_CI_unitstride_sbrr_R2C_dirReg
	.p2align	8
	.type	fft_rtc_fwd_len1400_factors_2_2_2_5_7_5_wgs_56_tpt_56_halfLds_half_ip_CI_unitstride_sbrr_R2C_dirReg,@function
fft_rtc_fwd_len1400_factors_2_2_2_5_7_5_wgs_56_tpt_56_halfLds_half_ip_CI_unitstride_sbrr_R2C_dirReg: ; @fft_rtc_fwd_len1400_factors_2_2_2_5_7_5_wgs_56_tpt_56_halfLds_half_ip_CI_unitstride_sbrr_R2C_dirReg
; %bb.0:
	s_clause 0x2
	s_load_b128 s[4:7], s[0:1], 0x0
	s_load_b64 s[8:9], s[0:1], 0x50
	s_load_b64 s[10:11], s[0:1], 0x18
	v_mul_u32_u24_e32 v1, 0x493, v0
	v_mov_b32_e32 v3, 0
	v_mov_b32_e32 v4, 0
	s_delay_alu instid0(VALU_DEP_3) | instskip(SKIP_1) | instid1(VALU_DEP_1)
	v_lshrrev_b32_e32 v2, 16, v1
	v_mov_b32_e32 v1, 0
	v_dual_mov_b32 v6, v1 :: v_dual_add_nc_u32 v5, ttmp9, v2
	s_wait_kmcnt 0x0
	v_cmp_lt_u64_e64 s2, s[6:7], 2
	s_delay_alu instid0(VALU_DEP_1)
	s_and_b32 vcc_lo, exec_lo, s2
	s_cbranch_vccnz .LBB0_8
; %bb.1:
	s_load_b64 s[2:3], s[0:1], 0x10
	v_mov_b32_e32 v3, 0
	v_mov_b32_e32 v4, 0
	s_add_nc_u64 s[12:13], s[10:11], 8
	s_mov_b64 s[14:15], 1
	s_wait_kmcnt 0x0
	s_add_nc_u64 s[16:17], s[2:3], 8
	s_mov_b32 s3, 0
.LBB0_2:                                ; =>This Inner Loop Header: Depth=1
	s_load_b64 s[18:19], s[16:17], 0x0
                                        ; implicit-def: $vgpr19_vgpr20
	s_mov_b32 s2, exec_lo
	s_wait_kmcnt 0x0
	v_or_b32_e32 v2, s19, v6
	s_delay_alu instid0(VALU_DEP_1)
	v_cmpx_ne_u64_e32 0, v[1:2]
	s_wait_alu 0xfffe
	s_xor_b32 s20, exec_lo, s2
	s_cbranch_execz .LBB0_4
; %bb.3:                                ;   in Loop: Header=BB0_2 Depth=1
	s_cvt_f32_u32 s2, s18
	s_cvt_f32_u32 s21, s19
	s_sub_nc_u64 s[24:25], 0, s[18:19]
	s_wait_alu 0xfffe
	s_delay_alu instid0(SALU_CYCLE_1) | instskip(SKIP_1) | instid1(SALU_CYCLE_2)
	s_fmamk_f32 s2, s21, 0x4f800000, s2
	s_wait_alu 0xfffe
	v_s_rcp_f32 s2, s2
	s_delay_alu instid0(TRANS32_DEP_1) | instskip(SKIP_1) | instid1(SALU_CYCLE_2)
	s_mul_f32 s2, s2, 0x5f7ffffc
	s_wait_alu 0xfffe
	s_mul_f32 s21, s2, 0x2f800000
	s_wait_alu 0xfffe
	s_delay_alu instid0(SALU_CYCLE_2) | instskip(SKIP_1) | instid1(SALU_CYCLE_2)
	s_trunc_f32 s21, s21
	s_wait_alu 0xfffe
	s_fmamk_f32 s2, s21, 0xcf800000, s2
	s_cvt_u32_f32 s23, s21
	s_wait_alu 0xfffe
	s_delay_alu instid0(SALU_CYCLE_1) | instskip(SKIP_1) | instid1(SALU_CYCLE_2)
	s_cvt_u32_f32 s22, s2
	s_wait_alu 0xfffe
	s_mul_u64 s[26:27], s[24:25], s[22:23]
	s_wait_alu 0xfffe
	s_mul_hi_u32 s29, s22, s27
	s_mul_i32 s28, s22, s27
	s_mul_hi_u32 s2, s22, s26
	s_mul_i32 s30, s23, s26
	s_wait_alu 0xfffe
	s_add_nc_u64 s[28:29], s[2:3], s[28:29]
	s_mul_hi_u32 s21, s23, s26
	s_mul_hi_u32 s31, s23, s27
	s_add_co_u32 s2, s28, s30
	s_wait_alu 0xfffe
	s_add_co_ci_u32 s2, s29, s21
	s_mul_i32 s26, s23, s27
	s_add_co_ci_u32 s27, s31, 0
	s_wait_alu 0xfffe
	s_add_nc_u64 s[26:27], s[2:3], s[26:27]
	s_wait_alu 0xfffe
	v_add_co_u32 v2, s2, s22, s26
	s_delay_alu instid0(VALU_DEP_1) | instskip(SKIP_1) | instid1(VALU_DEP_1)
	s_cmp_lg_u32 s2, 0
	s_add_co_ci_u32 s23, s23, s27
	v_readfirstlane_b32 s22, v2
	s_wait_alu 0xfffe
	s_delay_alu instid0(VALU_DEP_1)
	s_mul_u64 s[24:25], s[24:25], s[22:23]
	s_wait_alu 0xfffe
	s_mul_hi_u32 s27, s22, s25
	s_mul_i32 s26, s22, s25
	s_mul_hi_u32 s2, s22, s24
	s_mul_i32 s28, s23, s24
	s_wait_alu 0xfffe
	s_add_nc_u64 s[26:27], s[2:3], s[26:27]
	s_mul_hi_u32 s21, s23, s24
	s_mul_hi_u32 s22, s23, s25
	s_wait_alu 0xfffe
	s_add_co_u32 s2, s26, s28
	s_add_co_ci_u32 s2, s27, s21
	s_mul_i32 s24, s23, s25
	s_add_co_ci_u32 s25, s22, 0
	s_wait_alu 0xfffe
	s_add_nc_u64 s[24:25], s[2:3], s[24:25]
	s_wait_alu 0xfffe
	v_add_co_u32 v2, s2, v2, s24
	s_delay_alu instid0(VALU_DEP_1) | instskip(SKIP_1) | instid1(VALU_DEP_1)
	s_cmp_lg_u32 s2, 0
	s_add_co_ci_u32 s2, s23, s25
	v_mul_hi_u32 v13, v5, v2
	s_wait_alu 0xfffe
	v_mad_co_u64_u32 v[7:8], null, v5, s2, 0
	v_mad_co_u64_u32 v[9:10], null, v6, v2, 0
	;; [unrolled: 1-line block ×3, first 2 shown]
	s_delay_alu instid0(VALU_DEP_3) | instskip(SKIP_1) | instid1(VALU_DEP_4)
	v_add_co_u32 v2, vcc_lo, v13, v7
	s_wait_alu 0xfffd
	v_add_co_ci_u32_e32 v7, vcc_lo, 0, v8, vcc_lo
	s_delay_alu instid0(VALU_DEP_2) | instskip(SKIP_1) | instid1(VALU_DEP_2)
	v_add_co_u32 v2, vcc_lo, v2, v9
	s_wait_alu 0xfffd
	v_add_co_ci_u32_e32 v2, vcc_lo, v7, v10, vcc_lo
	s_wait_alu 0xfffd
	v_add_co_ci_u32_e32 v7, vcc_lo, 0, v12, vcc_lo
	s_delay_alu instid0(VALU_DEP_2) | instskip(SKIP_1) | instid1(VALU_DEP_2)
	v_add_co_u32 v2, vcc_lo, v2, v11
	s_wait_alu 0xfffd
	v_add_co_ci_u32_e32 v9, vcc_lo, 0, v7, vcc_lo
	s_delay_alu instid0(VALU_DEP_2) | instskip(SKIP_1) | instid1(VALU_DEP_3)
	v_mul_lo_u32 v10, s19, v2
	v_mad_co_u64_u32 v[7:8], null, s18, v2, 0
	v_mul_lo_u32 v11, s18, v9
	s_delay_alu instid0(VALU_DEP_2) | instskip(NEXT) | instid1(VALU_DEP_2)
	v_sub_co_u32 v7, vcc_lo, v5, v7
	v_add3_u32 v8, v8, v11, v10
	s_delay_alu instid0(VALU_DEP_1) | instskip(SKIP_1) | instid1(VALU_DEP_1)
	v_sub_nc_u32_e32 v10, v6, v8
	s_wait_alu 0xfffd
	v_subrev_co_ci_u32_e64 v10, s2, s19, v10, vcc_lo
	v_add_co_u32 v11, s2, v2, 2
	s_wait_alu 0xf1ff
	v_add_co_ci_u32_e64 v12, s2, 0, v9, s2
	v_sub_co_u32 v13, s2, v7, s18
	v_sub_co_ci_u32_e32 v8, vcc_lo, v6, v8, vcc_lo
	s_wait_alu 0xf1ff
	v_subrev_co_ci_u32_e64 v10, s2, 0, v10, s2
	s_delay_alu instid0(VALU_DEP_3) | instskip(NEXT) | instid1(VALU_DEP_3)
	v_cmp_le_u32_e32 vcc_lo, s18, v13
	v_cmp_eq_u32_e64 s2, s19, v8
	s_wait_alu 0xfffd
	v_cndmask_b32_e64 v13, 0, -1, vcc_lo
	v_cmp_le_u32_e32 vcc_lo, s19, v10
	s_wait_alu 0xfffd
	v_cndmask_b32_e64 v14, 0, -1, vcc_lo
	v_cmp_le_u32_e32 vcc_lo, s18, v7
	;; [unrolled: 3-line block ×3, first 2 shown]
	s_wait_alu 0xfffd
	v_cndmask_b32_e64 v15, 0, -1, vcc_lo
	v_cmp_eq_u32_e32 vcc_lo, s19, v10
	s_wait_alu 0xf1ff
	s_delay_alu instid0(VALU_DEP_2)
	v_cndmask_b32_e64 v7, v15, v7, s2
	s_wait_alu 0xfffd
	v_cndmask_b32_e32 v10, v14, v13, vcc_lo
	v_add_co_u32 v13, vcc_lo, v2, 1
	s_wait_alu 0xfffd
	v_add_co_ci_u32_e32 v14, vcc_lo, 0, v9, vcc_lo
	s_delay_alu instid0(VALU_DEP_3) | instskip(SKIP_1) | instid1(VALU_DEP_2)
	v_cmp_ne_u32_e32 vcc_lo, 0, v10
	s_wait_alu 0xfffd
	v_cndmask_b32_e32 v8, v14, v12, vcc_lo
	v_cndmask_b32_e32 v10, v13, v11, vcc_lo
	v_cmp_ne_u32_e32 vcc_lo, 0, v7
	s_wait_alu 0xfffd
	s_delay_alu instid0(VALU_DEP_2)
	v_dual_cndmask_b32 v20, v9, v8 :: v_dual_cndmask_b32 v19, v2, v10
.LBB0_4:                                ;   in Loop: Header=BB0_2 Depth=1
	s_wait_alu 0xfffe
	s_and_not1_saveexec_b32 s2, s20
	s_cbranch_execz .LBB0_6
; %bb.5:                                ;   in Loop: Header=BB0_2 Depth=1
	v_cvt_f32_u32_e32 v2, s18
	s_sub_co_i32 s20, 0, s18
	v_mov_b32_e32 v20, v1
	s_delay_alu instid0(VALU_DEP_2) | instskip(NEXT) | instid1(TRANS32_DEP_1)
	v_rcp_iflag_f32_e32 v2, v2
	v_mul_f32_e32 v2, 0x4f7ffffe, v2
	s_delay_alu instid0(VALU_DEP_1) | instskip(SKIP_1) | instid1(VALU_DEP_1)
	v_cvt_u32_f32_e32 v2, v2
	s_wait_alu 0xfffe
	v_mul_lo_u32 v7, s20, v2
	s_delay_alu instid0(VALU_DEP_1) | instskip(NEXT) | instid1(VALU_DEP_1)
	v_mul_hi_u32 v7, v2, v7
	v_add_nc_u32_e32 v2, v2, v7
	s_delay_alu instid0(VALU_DEP_1) | instskip(NEXT) | instid1(VALU_DEP_1)
	v_mul_hi_u32 v2, v5, v2
	v_mul_lo_u32 v7, v2, s18
	v_add_nc_u32_e32 v8, 1, v2
	s_delay_alu instid0(VALU_DEP_2) | instskip(NEXT) | instid1(VALU_DEP_1)
	v_sub_nc_u32_e32 v7, v5, v7
	v_subrev_nc_u32_e32 v9, s18, v7
	v_cmp_le_u32_e32 vcc_lo, s18, v7
	s_wait_alu 0xfffd
	s_delay_alu instid0(VALU_DEP_2) | instskip(NEXT) | instid1(VALU_DEP_1)
	v_dual_cndmask_b32 v7, v7, v9 :: v_dual_cndmask_b32 v2, v2, v8
	v_cmp_le_u32_e32 vcc_lo, s18, v7
	s_delay_alu instid0(VALU_DEP_2) | instskip(SKIP_1) | instid1(VALU_DEP_1)
	v_add_nc_u32_e32 v8, 1, v2
	s_wait_alu 0xfffd
	v_cndmask_b32_e32 v19, v2, v8, vcc_lo
.LBB0_6:                                ;   in Loop: Header=BB0_2 Depth=1
	s_wait_alu 0xfffe
	s_or_b32 exec_lo, exec_lo, s2
	s_load_b64 s[20:21], s[12:13], 0x0
	v_mul_lo_u32 v2, v20, s18
	v_mul_lo_u32 v9, v19, s19
	v_mad_co_u64_u32 v[7:8], null, v19, s18, 0
	s_add_nc_u64 s[14:15], s[14:15], 1
	s_add_nc_u64 s[12:13], s[12:13], 8
	s_wait_alu 0xfffe
	v_cmp_ge_u64_e64 s2, s[14:15], s[6:7]
	s_add_nc_u64 s[16:17], s[16:17], 8
	s_delay_alu instid0(VALU_DEP_2) | instskip(NEXT) | instid1(VALU_DEP_3)
	v_add3_u32 v2, v8, v9, v2
	v_sub_co_u32 v5, vcc_lo, v5, v7
	s_wait_alu 0xfffd
	s_delay_alu instid0(VALU_DEP_2) | instskip(SKIP_3) | instid1(VALU_DEP_2)
	v_sub_co_ci_u32_e32 v2, vcc_lo, v6, v2, vcc_lo
	s_and_b32 vcc_lo, exec_lo, s2
	s_wait_kmcnt 0x0
	v_mul_lo_u32 v6, s21, v5
	v_mul_lo_u32 v2, s20, v2
	v_mad_co_u64_u32 v[3:4], null, s20, v5, v[3:4]
	s_delay_alu instid0(VALU_DEP_1)
	v_add3_u32 v4, v6, v4, v2
	s_wait_alu 0xfffe
	s_cbranch_vccnz .LBB0_9
; %bb.7:                                ;   in Loop: Header=BB0_2 Depth=1
	v_dual_mov_b32 v5, v19 :: v_dual_mov_b32 v6, v20
	s_branch .LBB0_2
.LBB0_8:
	v_dual_mov_b32 v20, v6 :: v_dual_mov_b32 v19, v5
.LBB0_9:
	s_lshl_b64 s[2:3], s[6:7], 3
	v_mul_hi_u32 v1, 0x4924925, v0
	s_wait_alu 0xfffe
	s_add_nc_u64 s[2:3], s[10:11], s[2:3]
	s_load_b64 s[0:1], s[0:1], 0x20
	s_load_b64 s[2:3], s[2:3], 0x0
	s_delay_alu instid0(VALU_DEP_1) | instskip(NEXT) | instid1(VALU_DEP_1)
	v_mul_u32_u24_e32 v1, 56, v1
	v_sub_nc_u32_e32 v0, v0, v1
	s_delay_alu instid0(VALU_DEP_1)
	v_add_nc_u32_e32 v2, 56, v0
	v_add_nc_u32_e32 v18, 0x70, v0
	;; [unrolled: 1-line block ×4, first 2 shown]
	s_wait_kmcnt 0x0
	v_cmp_gt_u64_e32 vcc_lo, s[0:1], v[19:20]
	v_mul_lo_u32 v1, s2, v20
	v_mul_lo_u32 v7, s3, v19
	v_mad_co_u64_u32 v[5:6], null, s2, v19, v[3:4]
	v_cmp_le_u64_e64 s0, s[0:1], v[19:20]
	v_add_nc_u32_e32 v15, 0x118, v0
	v_add_nc_u32_e32 v14, 0x150, v0
	;; [unrolled: 1-line block ×3, first 2 shown]
	v_or_b32_e32 v13, 0x1c0, v0
	v_add_nc_u32_e32 v10, 0x1f8, v0
	v_add_nc_u32_e32 v9, 0x230, v0
	v_add_nc_u32_e32 v8, 0x268, v0
	v_add3_u32 v6, v7, v6, v1
	v_add_nc_u32_e32 v4, 0x2a0, v0
	s_and_saveexec_b32 s1, s0
	s_wait_alu 0xfffe
	s_xor_b32 s0, exec_lo, s1
	s_cbranch_execz .LBB0_11
; %bb.10:
	v_add_nc_u32_e32 v2, 56, v0
	v_add_nc_u32_e32 v18, 0x70, v0
	v_add_nc_u32_e32 v17, 0xa8, v0
	v_add_nc_u32_e32 v16, 0xe0, v0
	v_add_nc_u32_e32 v15, 0x118, v0
	v_add_nc_u32_e32 v14, 0x150, v0
	v_add_nc_u32_e32 v11, 0x188, v0
	v_or_b32_e32 v13, 0x1c0, v0
	v_add_nc_u32_e32 v10, 0x1f8, v0
	v_add_nc_u32_e32 v9, 0x230, v0
	;; [unrolled: 1-line block ×4, first 2 shown]
.LBB0_11:
	s_wait_alu 0xfffe
	s_or_saveexec_b32 s1, s0
	v_lshlrev_b64_e32 v[6:7], 2, v[5:6]
	s_wait_alu 0xfffe
	s_xor_b32 exec_lo, exec_lo, s1
	s_cbranch_execz .LBB0_13
; %bb.12:
	v_mov_b32_e32 v1, 0
	s_delay_alu instid0(VALU_DEP_1) | instskip(SKIP_3) | instid1(VALU_DEP_2)
	v_lshlrev_b64_e32 v[19:20], 2, v[0:1]
	v_add_co_u32 v1, s0, s8, v6
	s_wait_alu 0xf1ff
	v_add_co_ci_u32_e64 v3, s0, s9, v7, s0
	v_add_co_u32 v19, s0, v1, v19
	s_wait_alu 0xf1ff
	s_delay_alu instid0(VALU_DEP_2)
	v_add_co_ci_u32_e64 v20, s0, v3, v20, s0
	s_clause 0x18
	global_load_b32 v1, v[19:20], off
	global_load_b32 v3, v[19:20], off offset:224
	global_load_b32 v5, v[19:20], off offset:448
	;; [unrolled: 1-line block ×24, first 2 shown]
	v_lshl_add_u32 v20, v0, 2, 0
	s_delay_alu instid0(VALU_DEP_1)
	v_add_nc_u32_e32 v42, 0x400, v20
	v_add_nc_u32_e32 v41, 0x200, v20
	;; [unrolled: 1-line block ×7, first 2 shown]
	s_wait_loadcnt 0x17
	ds_store_2addr_b32 v20, v1, v3 offset1:56
	s_wait_loadcnt 0x15
	ds_store_2addr_b32 v20, v5, v12 offset0:112 offset1:168
	s_wait_loadcnt 0x13
	ds_store_2addr_b32 v41, v21, v22 offset0:96 offset1:152
	;; [unrolled: 2-line block ×11, first 2 shown]
	s_wait_loadcnt 0x0
	ds_store_b32 v20, v19 offset:5376
.LBB0_13:
	s_or_b32 exec_lo, exec_lo, s1
	v_lshlrev_b32_e32 v19, 2, v0
	global_wb scope:SCOPE_SE
	s_wait_dscnt 0x0
	s_barrier_signal -1
	s_barrier_wait -1
	global_inv scope:SCOPE_SE
	v_add_nc_u32_e32 v48, 0, v19
	v_lshl_add_u32 v3, v16, 3, 0
	v_lshl_add_u32 v1, v15, 3, 0
	;; [unrolled: 1-line block ×4, first 2 shown]
	v_add_nc_u32_e32 v5, 0x800, v48
	v_add_nc_u32_e32 v12, 0x1400, v48
	;; [unrolled: 1-line block ×5, first 2 shown]
	ds_load_2addr_b32 v[21:22], v5 offset0:160 offset1:188
	ds_load_2addr_b32 v[23:24], v12 offset0:36 offset1:92
	;; [unrolled: 1-line block ×4, first 2 shown]
	v_add_nc_u32_e32 v36, 0x200, v48
	v_add_nc_u32_e32 v26, 0xc00, v48
	ds_load_2addr_b32 v[38:39], v25 offset0:192 offset1:248
	ds_load_2addr_b32 v[40:41], v30 offset0:68 offset1:124
	;; [unrolled: 1-line block ×5, first 2 shown]
	v_add_nc_u32_e32 v36, 0xa00, v48
	ds_load_2addr_b32 v[49:50], v48 offset0:112 offset1:168
	ds_load_2addr_b32 v[54:55], v26 offset0:100 offset1:156
	v_lshl_add_u32 v12, v13, 3, 0
	v_lshl_add_u32 v35, v10, 3, 0
	v_add_nc_u32_e32 v58, v48, v19
	v_lshl_add_u32 v37, v9, 3, 0
	v_cmp_gt_u32_e64 s0, 28, v0
	v_lshl_add_u32 v29, v2, 3, 0
	v_lshl_add_u32 v33, v18, 3, 0
	;; [unrolled: 1-line block ×3, first 2 shown]
	s_wait_dscnt 0x9
	v_pk_add_f16 v53, v21, v24 neg_lo:[0,1] neg_hi:[0,1]
	ds_load_2addr_b32 v[24:25], v48 offset1:56
	ds_load_2addr_b32 v[56:57], v36 offset0:116 offset1:172
	s_wait_dscnt 0xa
	v_pk_add_f16 v23, v28, v23 neg_lo:[0,1] neg_hi:[0,1]
	s_wait_dscnt 0x9
	v_pk_add_f16 v32, v27, v32 neg_lo:[0,1] neg_hi:[0,1]
	;; [unrolled: 2-line block ×3, first 2 shown]
	v_pk_fma_f16 v52, v21, 2.0, v53 op_sel_hi:[1,0,1] neg_lo:[0,0,1] neg_hi:[0,0,1]
	v_lshl_add_u32 v36, v8, 3, 0
	v_pk_fma_f16 v21, v28, 2.0, v23 op_sel_hi:[1,0,1] neg_lo:[0,0,1] neg_hi:[0,0,1]
	v_pk_add_f16 v28, v39, v31 neg_lo:[0,1] neg_hi:[0,1]
	v_pk_add_f16 v31, v38, v41 neg_lo:[0,1] neg_hi:[0,1]
	;; [unrolled: 1-line block ×3, first 2 shown]
	v_pk_fma_f16 v45, v47, 2.0, v44 op_sel_hi:[1,0,1] neg_lo:[0,0,1] neg_hi:[0,0,1]
	s_wait_dscnt 0x2
	v_pk_add_f16 v47, v46, v55 neg_lo:[0,1] neg_hi:[0,1]
	v_pk_add_f16 v54, v50, v54 neg_lo:[0,1] neg_hi:[0,1]
	;; [unrolled: 1-line block ×3, first 2 shown]
	v_pk_fma_f16 v38, v38, 2.0, v31 op_sel_hi:[1,0,1] neg_lo:[0,0,1] neg_hi:[0,0,1]
	v_pk_fma_f16 v39, v39, 2.0, v28 op_sel_hi:[1,0,1] neg_lo:[0,0,1] neg_hi:[0,0,1]
	;; [unrolled: 1-line block ×5, first 2 shown]
	s_wait_dscnt 0x1
	v_pk_add_f16 v22, v24, v22 neg_lo:[0,1] neg_hi:[0,1]
	s_wait_dscnt 0x0
	v_pk_add_f16 v56, v25, v56 neg_lo:[0,1] neg_hi:[0,1]
	v_pk_add_f16 v55, v49, v57 neg_lo:[0,1] neg_hi:[0,1]
	v_pk_fma_f16 v43, v43, 2.0, v40 op_sel_hi:[1,0,1] neg_lo:[0,0,1] neg_hi:[0,0,1]
	v_pk_fma_f16 v42, v42, 2.0, v41 op_sel_hi:[1,0,1] neg_lo:[0,0,1] neg_hi:[0,0,1]
	;; [unrolled: 1-line block ×5, first 2 shown]
	global_wb scope:SCOPE_SE
	s_barrier_signal -1
	s_barrier_wait -1
	global_inv scope:SCOPE_SE
	ds_store_2addr_b32 v58, v24, v22 offset1:1
	ds_store_2addr_b32 v29, v25, v56 offset1:1
	;; [unrolled: 1-line block ×12, first 2 shown]
	s_and_saveexec_b32 s1, s0
	s_cbranch_execz .LBB0_15
; %bb.14:
	v_lshl_add_u32 v21, v4, 3, 0
	ds_store_2addr_b32 v21, v52, v53 offset1:1
.LBB0_15:
	s_wait_alu 0xfffe
	s_or_b32 exec_lo, exec_lo, s1
	v_lshlrev_b32_e32 v21, 2, v16
	v_lshlrev_b32_e32 v38, 2, v15
	;; [unrolled: 1-line block ×4, first 2 shown]
	v_lshl_add_u32 v51, v2, 2, 0
	v_lshlrev_b32_e32 v64, 2, v13
	v_lshl_add_u32 v50, v18, 2, 0
	v_lshlrev_b32_e32 v65, 2, v10
	global_wb scope:SCOPE_SE
	s_wait_dscnt 0x0
	s_barrier_signal -1
	s_barrier_wait -1
	global_inv scope:SCOPE_SE
	ds_load_2addr_b32 v[22:23], v5 offset0:188 offset1:244
	v_lshl_add_u32 v5, v17, 2, 0
	v_lshlrev_b32_e32 v66, 2, v9
	v_sub_nc_u32_e32 v31, v3, v21
	v_sub_nc_u32_e32 v32, v1, v38
	v_lshlrev_b32_e32 v71, 2, v8
	ds_load_2addr_b32 v[24:25], v26 offset0:44 offset1:100
	ds_load_2addr_b32 v[28:29], v26 offset0:156 offset1:212
	v_sub_nc_u32_e32 v33, v34, v62
	ds_load_2addr_b32 v[26:27], v30 offset0:12 offset1:68
	v_sub_nc_u32_e32 v39, v20, v63
	ds_load_b32 v54, v48
	ds_load_b32 v55, v51
	;; [unrolled: 1-line block ×8, first 2 shown]
	v_add_nc_u32_e32 v32, 0x1200, v48
	v_sub_nc_u32_e32 v39, v12, v64
	v_sub_nc_u32_e32 v40, v35, v65
	;; [unrolled: 1-line block ×4, first 2 shown]
	ds_load_2addr_b32 v[30:31], v30 offset0:124 offset1:180
	ds_load_2addr_b32 v[32:33], v32 offset0:108 offset1:164
	ds_load_b32 v72, v39
	ds_load_b32 v73, v40
	ds_load_b32 v74, v41
	ds_load_b32 v76, v42
	v_lshlrev_b32_e32 v39, 1, v2
	v_lshlrev_b32_e32 v40, 1, v18
	;; [unrolled: 1-line block ×11, first 2 shown]
	v_lshl_add_u32 v49, v4, 2, 0
	s_and_saveexec_b32 s1, s0
	s_cbranch_execz .LBB0_17
; %bb.16:
	ds_load_b32 v52, v49
	ds_load_b32 v53, v48 offset:5488
.LBB0_17:
	s_wait_alu 0xfffe
	s_or_b32 exec_lo, exec_lo, s1
	v_and_b32_e32 v81, 1, v0
	v_sub_nc_u32_e32 v79, 0, v62
	v_sub_nc_u32_e32 v75, 0, v64
	v_lshlrev_b32_e32 v64, 1, v0
	s_wait_dscnt 0x0
	v_lshrrev_b32_e32 v62, 16, v53
	v_lshlrev_b32_e32 v69, 2, v81
	v_sub_nc_u32_e32 v70, 0, v66
	v_and_or_b32 v66, 0xfc, v39, v81
	v_sub_nc_u32_e32 v77, 0, v63
	v_lshrrev_b32_e32 v63, 16, v52
	global_load_b32 v82, v69, s[4:5]
	v_sub_nc_u32_e32 v69, 0, v65
	v_and_or_b32 v65, 0x7c, v64, v81
	v_lshl_add_u32 v94, v66, 2, 0
	v_and_or_b32 v83, 0x1fc, v40, v81
	v_and_or_b32 v84, 0x1fc, v41, v81
	;; [unrolled: 1-line block ×3, first 2 shown]
	v_lshl_add_u32 v93, v65, 2, 0
	v_sub_nc_u32_e32 v80, 0, v21
	v_sub_nc_u32_e32 v78, 0, v38
	;; [unrolled: 1-line block ×3, first 2 shown]
	v_lshlrev_b32_e32 v38, 1, v4
	v_and_or_b32 v86, 0x2fc, v43, v81
	v_and_or_b32 v87, 0x3fc, v44, v81
	;; [unrolled: 1-line block ×7, first 2 shown]
	v_lshl_add_u32 v83, v83, 2, 0
	v_lshl_add_u32 v84, v84, 2, 0
	;; [unrolled: 1-line block ×10, first 2 shown]
	global_wb scope:SCOPE_SE
	s_wait_loadcnt 0x0
	s_barrier_signal -1
	s_barrier_wait -1
	global_inv scope:SCOPE_SE
	v_lshrrev_b32_e32 v95, 16, v82
	v_mul_f16_e32 v96, v62, v82
	v_pk_mul_f16 v97, v82, v22 op_sel:[0,1]
	v_mul_f16_e32 v66, v53, v82
	v_pk_mul_f16 v98, v82, v23 op_sel:[0,1]
	v_pk_mul_f16 v99, v82, v24 op_sel:[0,1]
	;; [unrolled: 1-line block ×11, first 2 shown]
	v_fmac_f16_e32 v96, v53, v95
	v_pk_fma_f16 v53, v82, v22, v97 op_sel:[0,0,1] op_sel_hi:[1,1,0] neg_lo:[0,0,1] neg_hi:[0,0,1]
	v_pk_fma_f16 v22, v82, v22, v97 op_sel:[0,0,1] op_sel_hi:[1,0,0]
	v_fma_f16 v62, -v62, v95, v66
	v_pk_fma_f16 v95, v82, v23, v98 op_sel:[0,0,1] op_sel_hi:[1,1,0] neg_lo:[0,0,1] neg_hi:[0,0,1]
	v_pk_fma_f16 v23, v82, v23, v98 op_sel:[0,0,1] op_sel_hi:[1,0,0]
	v_pk_fma_f16 v97, v82, v24, v99 op_sel:[0,0,1] op_sel_hi:[1,1,0] neg_lo:[0,0,1] neg_hi:[0,0,1]
	v_pk_fma_f16 v24, v82, v24, v99 op_sel:[0,0,1] op_sel_hi:[1,0,0]
	;; [unrolled: 2-line block ×11, first 2 shown]
	v_bfi_b32 v22, 0xffff, v53, v22
	v_bfi_b32 v23, 0xffff, v95, v23
	;; [unrolled: 1-line block ×6, first 2 shown]
	v_sub_f16_e32 v65, v52, v62
	v_sub_f16_e32 v66, v63, v96
	v_bfi_b32 v29, 0xffff, v100, v29
	v_bfi_b32 v26, 0xffff, v101, v26
	v_bfi_b32 v27, 0xffff, v102, v27
	v_bfi_b32 v30, 0xffff, v103, v30
	v_bfi_b32 v31, 0xffff, v104, v31
	v_bfi_b32 v32, 0xffff, v105, v32
	v_pk_add_f16 v22, v54, v22 neg_lo:[0,1] neg_hi:[0,1]
	v_pk_add_f16 v23, v55, v23 neg_lo:[0,1] neg_hi:[0,1]
	;; [unrolled: 1-line block ×6, first 2 shown]
	v_fma_f16 v62, v52, 2.0, -v65
	v_fma_f16 v63, v63, 2.0, -v66
	v_pk_add_f16 v29, v59, v29 neg_lo:[0,1] neg_hi:[0,1]
	v_pk_add_f16 v26, v67, v26 neg_lo:[0,1] neg_hi:[0,1]
	;; [unrolled: 1-line block ×6, first 2 shown]
	v_pk_fma_f16 v53, v54, 2.0, v22 op_sel_hi:[1,0,1] neg_lo:[0,0,1] neg_hi:[0,0,1]
	v_pk_fma_f16 v54, v55, 2.0, v23 op_sel_hi:[1,0,1] neg_lo:[0,0,1] neg_hi:[0,0,1]
	;; [unrolled: 1-line block ×12, first 2 shown]
	ds_store_2addr_b32 v93, v53, v22 offset1:2
	ds_store_2addr_b32 v94, v54, v23 offset1:2
	;; [unrolled: 1-line block ×12, first 2 shown]
	s_and_saveexec_b32 s1, s0
	s_cbranch_execz .LBB0_19
; %bb.18:
	v_and_or_b32 v22, 0x57c, v38, v81
	v_perm_b32 v23, v63, v62, 0x5040100
	v_perm_b32 v24, v66, v65, 0x5040100
	s_delay_alu instid0(VALU_DEP_3)
	v_lshl_add_u32 v22, v22, 2, 0
	ds_store_2addr_b32 v22, v23, v24 offset1:2
.LBB0_19:
	s_wait_alu 0xfffe
	s_or_b32 exec_lo, exec_lo, s1
	v_add_nc_u32_e32 v22, 0x800, v48
	v_add_nc_u32_e32 v26, 0xc00, v48
	;; [unrolled: 1-line block ×7, first 2 shown]
	global_wb scope:SCOPE_SE
	s_wait_dscnt 0x0
	s_barrier_signal -1
	s_barrier_wait -1
	global_inv scope:SCOPE_SE
	ds_load_2addr_b32 v[24:25], v22 offset0:188 offset1:244
	ds_load_2addr_b32 v[22:23], v26 offset0:44 offset1:100
	;; [unrolled: 1-line block ×3, first 2 shown]
	v_add_nc_u32_e32 v57, v34, v79
	ds_load_2addr_b32 v[26:27], v30 offset0:12 offset1:68
	v_add_nc_u32_e32 v56, v20, v77
	ds_load_b32 v3, v48
	ds_load_b32 v20, v51
	;; [unrolled: 1-line block ×8, first 2 shown]
	v_add_nc_u32_e32 v54, v35, v69
	v_add_nc_u32_e32 v53, v37, v70
	;; [unrolled: 1-line block ×3, first 2 shown]
	ds_load_2addr_b32 v[30:31], v30 offset0:124 offset1:180
	ds_load_2addr_b32 v[32:33], v1 offset0:108 offset1:164
	ds_load_b32 v12, v55
	ds_load_b32 v35, v54
	;; [unrolled: 1-line block ×4, first 2 shown]
	s_and_saveexec_b32 s1, s0
	s_cbranch_execz .LBB0_21
; %bb.20:
	ds_load_b32 v62, v49
	ds_load_b32 v65, v48 offset:5488
	s_wait_dscnt 0x1
	v_lshrrev_b32_e32 v63, 16, v62
	s_wait_dscnt 0x0
	v_lshrrev_b32_e32 v66, 16, v65
.LBB0_21:
	s_wait_alu 0xfffe
	s_or_b32 exec_lo, exec_lo, s1
	v_and_b32_e32 v69, 3, v0
	s_delay_alu instid0(VALU_DEP_1)
	v_lshlrev_b32_e32 v1, 2, v69
	v_and_or_b32 v64, 0x78, v64, v69
	v_and_or_b32 v39, 0xf8, v39, v69
	;; [unrolled: 1-line block ×4, first 2 shown]
	global_load_b32 v1, v1, s[4:5] offset:8
	v_and_or_b32 v42, 0x3f8, v42, v69
	v_and_or_b32 v43, 0x2f8, v43, v69
	;; [unrolled: 1-line block ×8, first 2 shown]
	v_lshl_add_u32 v64, v64, 2, 0
	v_lshl_add_u32 v39, v39, 2, 0
	v_lshl_add_u32 v40, v40, 2, 0
	v_lshl_add_u32 v41, v41, 2, 0
	v_lshl_add_u32 v42, v42, 2, 0
	v_lshl_add_u32 v43, v43, 2, 0
	v_lshl_add_u32 v44, v44, 2, 0
	v_lshl_add_u32 v45, v45, 2, 0
	v_lshl_add_u32 v46, v46, 2, 0
	v_lshl_add_u32 v47, v47, 2, 0
	v_lshl_add_u32 v60, v60, 2, 0
	v_lshl_add_u32 v61, v61, 2, 0
	global_wb scope:SCOPE_SE
	s_wait_loadcnt_dscnt 0x0
	s_barrier_signal -1
	s_barrier_wait -1
	global_inv scope:SCOPE_SE
	v_pk_mul_f16 v75, v1, v24 op_sel:[0,1]
	v_pk_mul_f16 v76, v1, v25 op_sel:[0,1]
	;; [unrolled: 1-line block ×4, first 2 shown]
	v_lshrrev_b32_e32 v71, 16, v1
	v_pk_mul_f16 v78, v1, v23 op_sel:[0,1]
	v_pk_mul_f16 v79, v1, v28 op_sel:[0,1]
	;; [unrolled: 1-line block ×8, first 2 shown]
	v_pk_fma_f16 v87, v1, v24, v75 op_sel:[0,0,1] op_sel_hi:[1,1,0] neg_lo:[0,0,1] neg_hi:[0,0,1]
	v_pk_fma_f16 v24, v1, v24, v75 op_sel:[0,0,1] op_sel_hi:[1,0,0]
	v_pk_fma_f16 v75, v1, v25, v76 op_sel:[0,0,1] op_sel_hi:[1,1,0] neg_lo:[0,0,1] neg_hi:[0,0,1]
	v_pk_fma_f16 v25, v1, v25, v76 op_sel:[0,0,1] op_sel_hi:[1,0,0]
	;; [unrolled: 2-line block ×4, first 2 shown]
	v_mul_f16_e32 v70, v66, v71
	v_mul_f16_e32 v71, v65, v71
	v_pk_fma_f16 v77, v1, v23, v78 op_sel:[0,0,1] op_sel_hi:[1,1,0] neg_lo:[0,0,1] neg_hi:[0,0,1]
	v_pk_fma_f16 v23, v1, v23, v78 op_sel:[0,0,1] op_sel_hi:[1,0,0]
	v_pk_fma_f16 v78, v1, v28, v79 op_sel:[0,0,1] op_sel_hi:[1,1,0] neg_lo:[0,0,1] neg_hi:[0,0,1]
	v_pk_fma_f16 v28, v1, v28, v79 op_sel:[0,0,1] op_sel_hi:[1,0,0]
	;; [unrolled: 2-line block ×8, first 2 shown]
	v_bfi_b32 v24, 0xffff, v87, v24
	v_bfi_b32 v25, 0xffff, v75, v25
	;; [unrolled: 1-line block ×3, first 2 shown]
	v_fma_f16 v65, v65, v1, -v70
	v_fmac_f16_e32 v71, v66, v1
	v_bfi_b32 v66, 0xffff, v77, v23
	v_bfi_b32 v28, 0xffff, v78, v28
	;; [unrolled: 1-line block ×9, first 2 shown]
	v_pk_add_f16 v24, v3, v24 neg_lo:[0,1] neg_hi:[0,1]
	v_pk_add_f16 v25, v20, v25 neg_lo:[0,1] neg_hi:[0,1]
	;; [unrolled: 1-line block ×3, first 2 shown]
	v_sub_f16_e32 v23, v62, v65
	v_pk_add_f16 v65, v67, v66 neg_lo:[0,1] neg_hi:[0,1]
	v_pk_add_f16 v28, v68, v28 neg_lo:[0,1] neg_hi:[0,1]
	;; [unrolled: 1-line block ×3, first 2 shown]
	v_sub_f16_e32 v1, v63, v71
	v_pk_add_f16 v29, v72, v29 neg_lo:[0,1] neg_hi:[0,1]
	v_pk_add_f16 v26, v73, v26 neg_lo:[0,1] neg_hi:[0,1]
	;; [unrolled: 1-line block ×6, first 2 shown]
	v_pk_fma_f16 v3, v3, 2.0, v24 op_sel_hi:[1,0,1] neg_lo:[0,0,1] neg_hi:[0,0,1]
	v_pk_fma_f16 v20, v20, 2.0, v25 op_sel_hi:[1,0,1] neg_lo:[0,0,1] neg_hi:[0,0,1]
	;; [unrolled: 1-line block ×12, first 2 shown]
	ds_store_2addr_b32 v64, v3, v24 offset1:4
	ds_store_2addr_b32 v39, v20, v25 offset1:4
	;; [unrolled: 1-line block ×12, first 2 shown]
	s_and_saveexec_b32 s1, s0
	s_cbranch_execz .LBB0_23
; %bb.22:
	v_and_or_b32 v3, 0x578, v38, v69
	v_fma_f16 v12, v62, 2.0, -v23
	v_fma_f16 v20, v63, 2.0, -v1
	s_delay_alu instid0(VALU_DEP_3) | instskip(NEXT) | instid1(VALU_DEP_2)
	v_lshl_add_u32 v3, v3, 2, 0
	v_pack_b32_f16 v12, v12, v20
	v_perm_b32 v20, v1, v23, 0x5040100
	ds_store_2addr_b32 v3, v12, v20 offset1:4
.LBB0_23:
	s_wait_alu 0xfffe
	s_or_b32 exec_lo, exec_lo, s1
	v_and_b32_e32 v30, 7, v0
	global_wb scope:SCOPE_SE
	s_wait_dscnt 0x0
	s_barrier_signal -1
	s_barrier_wait -1
	global_inv scope:SCOPE_SE
	v_lshlrev_b32_e32 v3, 4, v30
	v_add_nc_u32_e32 v26, 0xc00, v48
	v_add_nc_u32_e32 v27, 0x1000, v48
	;; [unrolled: 1-line block ×4, first 2 shown]
	global_load_b128 v[70:73], v3, s[4:5] offset:24
	v_add_nc_u32_e32 v3, 0xa00, v48
	ds_load_b32 v37, v48
	ds_load_b32 v34, v51
	;; [unrolled: 1-line block ×7, first 2 shown]
	ds_load_2addr_b32 v[43:44], v26 offset0:72 offset1:128
	ds_load_2addr_b32 v[74:75], v27 offset0:40 offset1:96
	ds_load_2addr_b32 v[46:47], v28 offset0:80 offset1:136
	ds_load_2addr_b32 v[63:64], v29 offset0:104 offset1:160
	ds_load_2addr_b32 v[76:77], v27 offset0:152 offset1:208
	v_add_nc_u32_e32 v12, 0x1400, v48
	ds_load_2addr_b32 v[78:79], v26 offset0:184 offset1:240
	ds_load_2addr_b32 v[80:81], v28 offset0:192 offset1:248
	;; [unrolled: 1-line block ×4, first 2 shown]
	global_wb scope:SCOPE_SE
	s_wait_loadcnt_dscnt 0x0
	s_barrier_signal -1
	s_barrier_wait -1
	global_inv scope:SCOPE_SE
	v_cmp_gt_u32_e64 s1, 32, v0
	v_lshrrev_b32_e32 v38, 16, v37
	v_lshrrev_b32_e32 v36, 16, v34
	;; [unrolled: 1-line block ×29, first 2 shown]
	s_delay_alu instid0(VALU_DEP_4)
	v_mul_f16_e32 v106, v39, v86
	v_mul_f16_e32 v107, v39, v67
	;; [unrolled: 1-line block ×32, first 2 shown]
	v_mul_f16_e64 v128, v103, v40
	v_mul_f16_e64 v129, v104, v41
	v_mul_f16_e32 v41, v74, v41
	v_mul_f16_e64 v130, v105, v42
	v_mul_f16_e32 v42, v85, v42
	v_fma_f16 v109, v43, v72, -v109
	v_fma_f16 v106, v70, v67, -v106
	v_fmac_f16_e32 v107, v70, v86
	v_fma_f16 v86, v71, v65, -v108
	v_fmac_f16_e32 v22, v71, v87
	v_fmac_f16_e32 v12, v88, v72
	;; [unrolled: 1-line block ×5, first 2 shown]
	v_fma_f16 v67, v75, v73, -v110
	v_fmac_f16_e32 v61, v92, v72
	v_fmac_f16_e32 v24, v93, v73
	v_fmac_f16_e32 v117, v94, v70
	v_fma_f16 v88, v64, v71, -v118
	v_fma_f16 v64, v77, v73, -v120
	v_fma_f16 v77, v80, v70, -v121
	v_fmac_f16_e32 v122, v98, v70
	v_mul_f16_e32 v127, v102, v39
	v_mul_f16_e32 v39, v81, v39
	;; [unrolled: 1-line block ×3, first 2 shown]
	v_fma_f16 v114, v44, v72, -v114
	v_fma_f16 v75, v46, v70, -v111
	;; [unrolled: 1-line block ×5, first 2 shown]
	v_fmac_f16_e32 v68, v95, v71
	v_fma_f16 v78, v78, v72, -v119
	v_fmac_f16_e32 v62, v96, v72
	v_fmac_f16_e32 v45, v97, v73
	v_fma_f16 v80, v82, v71, -v123
	v_fmac_f16_e32 v124, v99, v71
	v_fma_f16 v79, v79, v72, -v125
	;; [unrolled: 2-line block ×4, first 2 shown]
	v_fma_f16 v44, v74, v72, -v129
	v_fmac_f16_e32 v41, v104, v72
	v_fma_f16 v47, v85, v73, -v130
	v_fmac_f16_e32 v42, v105, v73
	v_add_f16_e32 v72, v37, v106
	v_add_f16_e32 v73, v86, v109
	v_sub_f16_e32 v74, v106, v86
	v_add_f16_e32 v82, v106, v67
	v_sub_f16_e32 v83, v86, v106
	v_sub_f16_e32 v84, v109, v67
	v_add_f16_e32 v85, v38, v107
	v_add_f16_e32 v89, v22, v12
	v_sub_f16_e32 v90, v106, v67
	v_sub_f16_e32 v95, v22, v107
	;; [unrolled: 1-line block ×3, first 2 shown]
	v_add_f16_e32 v106, v36, v112
	v_sub_f16_e32 v110, v112, v66
	v_sub_f16_e32 v111, v24, v61
	v_add_f16_e64 v128, v35, v117
	v_add_f16_e64 v135, v31, v77
	;; [unrolled: 1-line block ×3, first 2 shown]
	v_fma_f16 v46, v81, v70, -v127
	v_fmac_f16_e32 v39, v102, v70
	v_fmac_f16_e32 v40, v103, v71
	v_sub_f16_e32 v70, v107, v20
	v_sub_f16_e32 v71, v22, v12
	;; [unrolled: 1-line block ×5, first 2 shown]
	v_add_f16_e32 v94, v107, v20
	v_sub_f16_e32 v99, v112, v24
	v_sub_f16_e32 v100, v66, v61
	;; [unrolled: 1-line block ×4, first 2 shown]
	v_add_f16_e32 v107, v66, v61
	v_add_f16_e32 v113, v112, v24
	v_sub_f16_e32 v112, v66, v112
	v_sub_f16_e32 v119, v117, v45
	;; [unrolled: 1-line block ×3, first 2 shown]
	v_add_f16_e64 v129, v68, v62
	v_sub_f16_e64 v131, v117, v68
	v_add_f16_e64 v133, v117, v45
	v_sub_f16_e32 v117, v68, v117
	v_sub_f16_e64 v134, v62, v45
	v_add_f16_e64 v136, v80, v79
	v_sub_f16_e64 v139, v77, v80
	v_sub_f16_e64 v142, v80, v77
	v_add_f16_e64 v150, v43, v44
	v_add_f16_e32 v72, v72, v86
	v_sub_f16_e32 v86, v80, v79
	v_fma_f16 v73, -0.5, v73, v37
	v_fmac_f16_e32 v37, -0.5, v82
	v_add_f16_e32 v82, v83, v84
	v_add_f16_e32 v83, v85, v22
	v_fma_f16 v85, -0.5, v89, v38
	v_add_f16_e32 v89, v95, v96
	v_add_f16_e32 v66, v106, v66
	;; [unrolled: 1-line block ×3, first 2 shown]
	v_add_f16_e64 v68, v128, v68
	v_add_f16_e64 v111, v144, v124
	;; [unrolled: 1-line block ×3, first 2 shown]
	v_sub_f16_e32 v115, v61, v24
	v_sub_f16_e64 v132, v45, v62
	v_sub_f16_e64 v138, v124, v69
	;; [unrolled: 1-line block ×5, first 2 shown]
	v_add_f16_e64 v147, v124, v69
	v_sub_f16_e64 v149, v69, v60
	v_add_f16_e32 v74, v74, v81
	v_sub_f16_e32 v81, v39, v42
	v_fmac_f16_e32 v38, -0.5, v94
	v_add_f16_e32 v94, v104, v105
	v_add_f16_e64 v105, v117, v134
	v_fma_f16 v22, -0.5, v150, v25
	v_add_f16_e32 v72, v72, v109
	v_fmamk_f16 v109, v70, 0x3b9c, v73
	v_fmac_f16_e32 v73, 0xbb9c, v70
	v_add_f16_e32 v83, v83, v12
	v_fmamk_f16 v117, v71, 0xbb9c, v37
	v_fmac_f16_e32 v37, 0x3b9c, v71
	v_add_f16_e32 v61, v66, v61
	v_add_f16_e32 v62, v68, v62
	;; [unrolled: 1-line block ×4, first 2 shown]
	v_sub_f16_e32 v93, v20, v12
	v_sub_f16_e32 v108, v87, v114
	v_sub_f16_e64 v137, v122, v60
	v_add_f16_e64 v141, v77, v63
	v_sub_f16_e64 v145, v122, v124
	v_sub_f16_e64 v148, v124, v122
	v_add_f16_e32 v122, v122, v60
	v_sub_f16_e32 v77, v77, v63
	v_fma_f16 v96, -0.5, v107, v36
	v_fmac_f16_e32 v36, -0.5, v113
	v_fmamk_f16 v12, v81, 0x3b9c, v22
	v_fmac_f16_e32 v109, 0x38b4, v71
	v_fmac_f16_e32 v73, 0xb8b4, v71
	;; [unrolled: 1-line block ×4, first 2 shown]
	v_add_f16_e32 v70, v83, v20
	v_add_f16_e32 v71, v61, v24
	;; [unrolled: 1-line block ×5, first 2 shown]
	v_sub_f16_e32 v20, v40, v41
	v_sub_f16_e32 v24, v46, v43
	;; [unrolled: 1-line block ×3, first 2 shown]
	v_add_f16_e32 v61, v46, v47
	v_fmac_f16_e32 v22, 0xbb9c, v81
	v_add_f16_e32 v97, v34, v75
	v_sub_f16_e32 v101, v75, v87
	v_add_f16_e32 v103, v75, v65
	v_sub_f16_e32 v75, v75, v65
	v_add_f16_e32 v116, v32, v76
	v_add_f16_e64 v151, v25, v46
	v_fmamk_f16 v111, v108, 0x3b9c, v36
	v_fmac_f16_e32 v36, 0xbb9c, v108
	v_add_f16_e32 v67, v72, v67
	v_fmac_f16_e32 v12, 0x38b4, v20
	v_add_f16_e32 v72, v24, v60
	v_fmac_f16_e32 v25, -0.5, v61
	v_fmac_f16_e32 v22, 0xb8b4, v20
	v_add_f16_e32 v118, v88, v78
	v_sub_f16_e32 v121, v76, v88
	v_sub_f16_e32 v126, v88, v76
	v_sub_f16_e64 v130, v88, v78
	v_add_f16_e32 v88, v116, v88
	v_add_f16_e64 v116, v151, v43
	v_fmamk_f16 v80, v75, 0xbb9c, v96
	v_fmac_f16_e32 v96, 0x3b9c, v75
	v_fmac_f16_e32 v111, 0xb8b4, v75
	;; [unrolled: 1-line block ×6, first 2 shown]
	v_fmamk_f16 v24, v20, 0xbb9c, v25
	v_sub_f16_e32 v60, v43, v46
	v_sub_f16_e32 v61, v44, v47
	v_add_f16_e32 v74, v3, v39
	v_add_f16_e32 v75, v40, v41
	v_fmac_f16_e32 v25, 0x3b9c, v20
	v_fmac_f16_e32 v22, 0x34f2, v72
	v_add_f16_e32 v72, v39, v42
	v_add_f16_e32 v98, v87, v114
	;; [unrolled: 1-line block ×4, first 2 shown]
	v_fmac_f16_e32 v24, 0x38b4, v81
	v_add_f16_e32 v61, v60, v61
	v_add_f16_e32 v20, v74, v40
	v_fma_f16 v60, -0.5, v75, v3
	v_fmac_f16_e32 v25, 0xb8b4, v81
	v_sub_f16_e32 v43, v43, v44
	v_fmac_f16_e32 v3, -0.5, v72
	v_sub_f16_e32 v102, v65, v114
	v_add_f16_e32 v87, v87, v114
	v_fmamk_f16 v114, v90, 0xbb9c, v85
	v_add_f16_e32 v69, v69, v47
	v_sub_f16_e32 v46, v46, v47
	v_fmac_f16_e32 v24, 0x34f2, v61
	v_add_f16_e32 v47, v20, v41
	v_sub_f16_e32 v44, v39, v40
	v_sub_f16_e32 v74, v42, v41
	v_fmac_f16_e32 v25, 0x34f2, v61
	v_fmamk_f16 v61, v43, 0x3b9c, v3
	v_sub_f16_e32 v39, v40, v39
	v_sub_f16_e32 v40, v41, v42
	v_fmac_f16_e32 v3, 0xbb9c, v43
	v_lshrrev_b32_e32 v41, 3, v0
	v_fmamk_f16 v66, v91, 0x3b9c, v38
	v_fmac_f16_e32 v38, 0xbb9c, v91
	v_fmac_f16_e32 v85, 0x3b9c, v90
	v_add_f16_e32 v84, v92, v93
	v_fmac_f16_e32 v114, 0xb8b4, v91
	v_fmamk_f16 v20, v46, 0xbb9c, v60
	v_fmac_f16_e32 v60, 0x3b9c, v46
	v_fmac_f16_e32 v61, 0xb8b4, v46
	v_add_f16_e32 v39, v39, v40
	v_fmac_f16_e32 v3, 0x38b4, v46
	v_mul_u32_u24_e32 v40, 40, v41
	v_fmac_f16_e32 v66, 0xb8b4, v90
	v_fmac_f16_e32 v38, 0x38b4, v90
	v_fmac_f16_e32 v85, 0x38b4, v91
	v_fma_f16 v93, -0.5, v98, v34
	v_fmac_f16_e32 v34, -0.5, v103
	v_fmac_f16_e32 v114, 0x34f2, v84
	v_fmac_f16_e32 v20, 0xb8b4, v43
	v_add_f16_e32 v44, v44, v74
	v_fmac_f16_e32 v60, 0x38b4, v43
	v_fmac_f16_e32 v61, 0x34f2, v39
	;; [unrolled: 1-line block ×3, first 2 shown]
	v_lshrrev_b32_e32 v39, 3, v2
	v_or_b32_e32 v40, v40, v30
	v_fmac_f16_e32 v117, 0x34f2, v82
	v_fmac_f16_e32 v37, 0x34f2, v82
	;; [unrolled: 1-line block ×5, first 2 shown]
	v_sub_f16_e32 v123, v64, v78
	v_add_f16_e32 v125, v76, v64
	v_sub_f16_e32 v127, v78, v64
	v_add_f16_e32 v78, v88, v78
	v_fmamk_f16 v88, v99, 0x3b9c, v93
	v_fmamk_f16 v68, v100, 0xbb9c, v34
	v_fmac_f16_e32 v34, 0x3b9c, v100
	v_fmac_f16_e32 v93, 0xbb9c, v99
	v_add_f16_e32 v47, v47, v42
	v_fmac_f16_e32 v20, 0x34f2, v44
	v_fmac_f16_e32 v60, 0x34f2, v44
	v_mul_lo_u32 v39, v39, 40
	v_lshl_add_u32 v40, v40, 2, 0
	v_pack_b32_f16 v41, v67, v70
	v_pack_b32_f16 v42, v109, v114
	v_lshrrev_b32_e32 v44, 3, v18
	v_pack_b32_f16 v43, v117, v66
	v_pack_b32_f16 v37, v37, v38
	;; [unrolled: 1-line block ×3, first 2 shown]
	v_add_f16_e32 v92, v101, v102
	v_fma_f16 v101, -0.5, v118, v32
	v_fmac_f16_e32 v32, -0.5, v125
	v_fma_f16 v104, -0.5, v129, v35
	v_fmac_f16_e64 v35, -0.5, v133
	v_fmac_f16_e32 v88, 0x38b4, v100
	v_fmac_f16_e32 v80, 0xb8b4, v108
	v_add_f16_e32 v97, v112, v115
	v_fmac_f16_e32 v68, 0x38b4, v99
	v_fmac_f16_e32 v34, 0xb8b4, v99
	;; [unrolled: 1-line block ×4, first 2 shown]
	ds_store_2addr_b32 v40, v41, v42 offset1:8
	ds_store_2addr_b32 v40, v43, v37 offset0:16 offset1:24
	ds_store_b32 v40, v38 offset:128
	v_mul_lo_u32 v37, v44, 40
	v_sub_f16_e32 v76, v76, v64
	v_add_f16_e32 v98, v121, v123
	v_fmamk_f16 v121, v120, 0xbb9c, v32
	v_fmac_f16_e32 v32, 0x3b9c, v120
	v_fma_f16 v123, 0x3b9c, v130, v35
	v_fmac_f16_e64 v35, 0xbb9c, v130
	v_add_f16_e32 v65, v87, v65
	v_fmac_f16_e32 v88, 0x34f2, v92
	v_fmac_f16_e32 v80, 0x34f2, v95
	v_or_b32_e32 v39, v39, v30
	v_fmac_f16_e32 v68, 0x34f2, v94
	v_fmac_f16_e32 v34, 0x34f2, v94
	;; [unrolled: 1-line block ×6, first 2 shown]
	v_add_f16_e32 v102, v126, v127
	v_fmac_f16_e32 v32, 0xb8b4, v119
	v_fmac_f16_e32 v35, 0x38b4, v76
	v_lshl_add_u32 v38, v39, 2, 0
	v_pack_b32_f16 v39, v65, v71
	v_pack_b32_f16 v40, v88, v80
	v_or_b32_e32 v37, v37, v30
	v_fma_f16 v107, -0.5, v136, v31
	v_fmac_f16_e64 v31, -0.5, v141
	v_fma_f16 v113, -0.5, v147, v33
	v_fmac_f16_e32 v33, -0.5, v122
	v_fmamk_f16 v118, v119, 0x3b9c, v101
	v_fmamk_f16 v122, v76, 0xbb9c, v104
	v_pack_b32_f16 v42, v68, v111
	v_pack_b32_f16 v34, v34, v36
	;; [unrolled: 1-line block ×3, first 2 shown]
	v_fmac_f16_e32 v101, 0xbb9c, v119
	v_fmac_f16_e32 v104, 0x3b9c, v76
	v_lshrrev_b32_e32 v41, 3, v17
	v_fmac_f16_e32 v32, 0x34f2, v102
	v_fmac_f16_e32 v35, 0x34f2, v105
	ds_store_2addr_b32 v38, v39, v40 offset1:8
	ds_store_2addr_b32 v38, v42, v34 offset0:16 offset1:24
	ds_store_b32 v38, v36 offset:128
	v_lshl_add_u32 v34, v37, 2, 0
	v_lshrrev_b32_e32 v37, 3, v16
	v_add_f16_e64 v103, v131, v132
	v_fma_f16 v124, 0x3b9c, v137, v107
	v_fma_f16 v125, 0xbb9c, v138, v31
	v_fmac_f16_e64 v31, 0x3b9c, v138
	v_fmamk_f16 v126, v77, 0xbb9c, v113
	v_fmamk_f16 v127, v86, 0x3b9c, v33
	v_fmac_f16_e32 v33, 0xbb9c, v86
	v_fmac_f16_e32 v118, 0x38b4, v120
	v_fmac_f16_e64 v122, 0xb8b4, v130
	v_fmac_f16_e64 v107, 0xbb9c, v137
	v_fmac_f16_e32 v113, 0x3b9c, v77
	v_fmac_f16_e32 v121, 0x38b4, v119
	;; [unrolled: 1-line block ×4, first 2 shown]
	v_fmac_f16_e64 v104, 0x38b4, v130
	v_mul_lo_u32 v41, v41, 40
	v_pack_b32_f16 v32, v32, v35
	v_mul_lo_u32 v35, v37, 40
	v_add_f16_e64 v106, v139, v140
	v_add_f16_e64 v110, v142, v143
	;; [unrolled: 1-line block ×4, first 2 shown]
	v_add_f16_e32 v64, v78, v64
	v_fmac_f16_e64 v124, 0x38b4, v138
	v_fmac_f16_e64 v125, 0x38b4, v137
	;; [unrolled: 1-line block ×3, first 2 shown]
	v_fmac_f16_e32 v126, 0xb8b4, v86
	v_fmac_f16_e32 v127, 0xb8b4, v77
	v_fmac_f16_e32 v118, 0x34f2, v98
	v_fmac_f16_e32 v122, 0x34f2, v103
	v_fmac_f16_e32 v33, 0x38b4, v77
	v_fmac_f16_e64 v107, 0xb8b4, v138
	v_fmac_f16_e32 v113, 0x38b4, v86
	v_fmac_f16_e32 v121, 0x34f2, v102
	;; [unrolled: 1-line block ×11, first 2 shown]
	v_pack_b32_f16 v36, v64, v45
	v_pack_b32_f16 v38, v118, v122
	v_or_b32_e32 v39, v41, v30
	v_fmac_f16_e32 v107, 0x34f2, v106
	v_fmac_f16_e32 v113, 0x34f2, v112
	v_pack_b32_f16 v40, v121, v123
	v_pack_b32_f16 v37, v101, v104
	v_or_b32_e32 v30, v35, v30
	v_lshl_add_u32 v39, v39, 2, 0
	v_pack_b32_f16 v41, v62, v63
	v_pack_b32_f16 v42, v124, v126
	ds_store_2addr_b32 v34, v36, v38 offset1:8
	ds_store_2addr_b32 v34, v40, v32 offset0:16 offset1:24
	ds_store_b32 v34, v37 offset:128
	v_pack_b32_f16 v32, v125, v127
	v_pack_b32_f16 v31, v31, v33
	;; [unrolled: 1-line block ×3, first 2 shown]
	v_lshl_add_u32 v30, v30, 2, 0
	v_pack_b32_f16 v34, v69, v47
	v_pack_b32_f16 v35, v12, v20
	;; [unrolled: 1-line block ×5, first 2 shown]
	ds_store_2addr_b32 v39, v41, v42 offset1:8
	ds_store_2addr_b32 v39, v32, v31 offset0:16 offset1:24
	ds_store_b32 v39, v33 offset:128
	ds_store_2addr_b32 v30, v34, v35 offset1:8
	ds_store_2addr_b32 v30, v36, v37 offset0:16 offset1:24
	ds_store_b32 v30, v38 offset:128
	global_wb scope:SCOPE_SE
	s_wait_dscnt 0x0
	s_barrier_signal -1
	s_barrier_wait -1
	global_inv scope:SCOPE_SE
	ds_load_2addr_b32 v[30:31], v48 offset1:200
	ds_load_2addr_b32 v[46:47], v28 offset0:144 offset1:200
	ds_load_2addr_b32 v[34:35], v29 offset1:88
	ds_load_2addr_b32 v[44:45], v26 offset0:32 offset1:88
	ds_load_2addr_b32 v[32:33], v26 offset0:144 offset1:232
	;; [unrolled: 1-line block ×3, first 2 shown]
	ds_load_2addr_b32 v[40:41], v28 offset1:56
	ds_load_2addr_b32 v[38:39], v29 offset0:144 offset1:200
	ds_load_2addr_b32 v[36:37], v27 offset0:32 offset1:88
	ds_load_b32 v64, v50
	ds_load_b32 v65, v51
	ds_load_b32 v66, v48 offset:5248
                                        ; implicit-def: $vgpr63
                                        ; implicit-def: $vgpr29
                                        ; implicit-def: $vgpr62
	s_and_saveexec_b32 s2, s1
	s_cbranch_execz .LBB0_25
; %bb.24:
	v_add_nc_u32_e32 v1, 0x500, v48
	v_add_nc_u32_e32 v3, 0x1200, v48
	ds_load_b32 v12, v5
	ds_load_2addr_b32 v[22:23], v26 offset1:200
	ds_load_2addr_b32 v[24:25], v1 offset0:48 offset1:248
	ds_load_2addr_b32 v[28:29], v3 offset0:16 offset1:216
	s_wait_dscnt 0x3
	v_lshrrev_b32_e32 v20, 16, v12
	s_wait_dscnt 0x2
	v_lshrrev_b32_e32 v60, 16, v22
	v_lshrrev_b32_e32 v1, 16, v23
	s_wait_dscnt 0x1
	v_lshrrev_b32_e32 v61, 16, v24
	;; [unrolled: 3-line block ×3, first 2 shown]
	v_lshrrev_b32_e32 v63, 16, v29
.LBB0_25:
	s_wait_alu 0xfffe
	s_or_b32 exec_lo, exec_lo, s2
	v_subrev_nc_u32_e32 v26, 40, v0
	v_cmp_gt_u32_e64 s2, 40, v0
	v_mov_b32_e32 v27, 0
	v_and_b32_e32 v69, 0xff, v2
	s_wait_dscnt 0xb
	v_lshrrev_b32_e32 v102, 16, v31
	s_wait_dscnt 0xa
	v_lshrrev_b32_e32 v103, 16, v46
	s_wait_alu 0xf1ff
	v_cndmask_b32_e64 v86, v26, v0, s2
	s_wait_dscnt 0x9
	v_lshrrev_b32_e32 v104, 16, v35
	s_wait_dscnt 0x8
	v_lshrrev_b32_e32 v105, 16, v44
	;; [unrolled: 2-line block ×4, first 2 shown]
	v_mul_i32_i24_e32 v26, 6, v86
	v_lshlrev_b32_e32 v86, 2, v86
	s_wait_dscnt 0x3
	v_lshrrev_b32_e32 v94, 16, v36
	v_lshrrev_b32_e32 v95, 16, v43
	;; [unrolled: 1-line block ×3, first 2 shown]
	v_lshlrev_b64_e32 v[67:68], 2, v[26:27]
	v_mul_lo_u16 v26, 0xcd, v69
	v_lshrrev_b32_e32 v110, 16, v47
	v_lshrrev_b32_e32 v92, 16, v38
	;; [unrolled: 1-line block ×4, first 2 shown]
	v_add_co_u32 v72, s2, s4, v67
	v_and_b32_e32 v67, 0xff, v18
	v_lshrrev_b16 v87, 13, v26
	s_wait_alu 0xf1ff
	v_add_co_ci_u32_e64 v73, s2, s5, v68, s2
	v_cmp_lt_u32_e64 s2, 39, v0
	v_mul_lo_u16 v26, 0xcd, v67
	v_mul_lo_u16 v67, v87, 40
	s_clause 0x1
	global_load_b128 v[68:71], v[72:73], off offset:152
	global_load_b64 v[80:81], v[72:73], off offset:168
	v_and_b32_e32 v87, 0xffff, v87
	v_lshrrev_b16 v88, 13, v26
	v_sub_nc_u16 v26, v2, v67
	s_wait_alu 0xf1ff
	v_cndmask_b32_e64 v109, 0, 0x460, s2
	v_lshrrev_b32_e32 v97, 16, v34
	v_mul_u32_u24_e32 v87, 0x460, v87
	v_mul_lo_u16 v67, v88, 40
	v_and_b32_e32 v89, 0xff, v26
	v_add3_u32 v86, 0, v109, v86
	v_lshrrev_b32_e32 v98, 16, v39
	v_lshrrev_b32_e32 v99, 16, v32
	v_sub_nc_u16 v26, v18, v67
	v_mul_u32_u24_e32 v67, 6, v89
	v_lshlrev_b32_e32 v89, 2, v89
	v_lshrrev_b32_e32 v100, 16, v37
	s_wait_dscnt 0x0
	v_lshrrev_b32_e32 v101, 16, v66
	v_and_b32_e32 v90, 0xff, v26
	v_lshlrev_b32_e32 v26, 2, v67
	v_add3_u32 v87, 0, v87, v89
	v_lshrrev_b32_e32 v91, 16, v30
	v_and_b32_e32 v88, 0xffff, v88
	v_mul_u32_u24_e32 v67, 6, v90
	global_load_b128 v[72:75], v26, s[4:5] offset:152
	v_lshlrev_b32_e32 v90, 2, v90
	v_mul_u32_u24_e32 v88, 0x460, v88
	v_lshlrev_b32_e32 v67, 2, v67
	s_clause 0x2
	global_load_b64 v[82:83], v26, s[4:5] offset:168
	global_load_b128 v[76:79], v67, s[4:5] offset:152
	global_load_b64 v[84:85], v67, s[4:5] offset:168
	v_lshrrev_b32_e32 v67, 16, v65
	v_lshrrev_b32_e32 v26, 16, v64
	global_wb scope:SCOPE_SE
	s_wait_loadcnt 0x0
	s_barrier_signal -1
	s_barrier_wait -1
	global_inv scope:SCOPE_SE
	v_lshrrev_b32_e32 v89, 16, v68
	v_lshrrev_b32_e32 v109, 16, v69
	;; [unrolled: 1-line block ×6, first 2 shown]
	v_mul_f16_e32 v115, v89, v102
	v_mul_f16_e32 v89, v89, v31
	;; [unrolled: 1-line block ×12, first 2 shown]
	v_fma_f16 v31, v68, v31, -v115
	v_fmac_f16_e32 v89, v68, v102
	v_fma_f16 v46, v69, v46, -v116
	v_fmac_f16_e32 v109, v69, v103
	;; [unrolled: 2-line block ×6, first 2 shown]
	v_lshrrev_b32_e32 v68, 16, v72
	v_lshrrev_b32_e32 v69, 16, v73
	v_lshrrev_b32_e32 v80, 16, v82
	v_lshrrev_b32_e32 v81, 16, v83
	v_lshrrev_b32_e32 v70, 16, v74
	v_lshrrev_b32_e32 v71, 16, v75
	v_lshrrev_b32_e32 v102, 16, v76
	v_lshrrev_b32_e32 v103, 16, v77
	v_lshrrev_b32_e32 v104, 16, v78
	v_lshrrev_b32_e32 v105, 16, v79
	v_lshrrev_b32_e32 v106, 16, v84
	v_lshrrev_b32_e32 v107, 16, v85
	v_add_f16_e32 v115, v31, v42
	v_add_f16_e32 v116, v89, v114
	v_sub_f16_e32 v31, v31, v42
	v_sub_f16_e32 v42, v89, v114
	v_add_f16_e32 v89, v46, v33
	v_add_f16_e32 v114, v109, v113
	v_sub_f16_e32 v33, v46, v33
	v_sub_f16_e32 v46, v109, v113
	v_add_f16_e32 v109, v35, v44
	v_add_f16_e32 v113, v111, v112
	v_sub_f16_e32 v35, v44, v35
	v_sub_f16_e32 v44, v112, v111
	v_mul_f16_e32 v111, v68, v108
	v_mul_f16_e32 v68, v68, v40
	;; [unrolled: 1-line block ×24, first 2 shown]
	v_add_f16_e32 v127, v89, v115
	v_add_f16_e64 v128, v114, v116
	v_add_f16_e64 v131, v35, v33
	;; [unrolled: 1-line block ×3, first 2 shown]
	v_sub_f16_e64 v133, v35, v33
	v_sub_f16_e64 v134, v44, v46
	v_sub_f16_e32 v33, v33, v31
	v_sub_f16_e32 v46, v46, v42
	v_fma_f16 v40, v72, v40, -v111
	v_fmac_f16_e32 v68, v72, v108
	v_fma_f16 v47, v73, v47, -v112
	v_fmac_f16_e32 v69, v73, v110
	;; [unrolled: 2-line block ×4, first 2 shown]
	v_sub_f16_e64 v129, v89, v115
	v_sub_f16_e64 v130, v114, v116
	v_sub_f16_e32 v115, v115, v109
	v_sub_f16_e32 v116, v116, v113
	;; [unrolled: 1-line block ×6, first 2 shown]
	v_fma_f16 v38, v38, v74, -v117
	v_fmac_f16_e32 v70, v92, v74
	v_fma_f16 v45, v45, v75, -v118
	v_fmac_f16_e32 v71, v93, v75
	;; [unrolled: 2-line block ×8, first 2 shown]
	v_add_f16_e32 v72, v109, v127
	v_add_f16_e64 v73, v113, v128
	v_mul_f16_e64 v78, 0xb846, v133
	v_mul_f16_e64 v79, 0xb846, v134
	v_mul_f16_e32 v82, 0x3b00, v33
	v_mul_f16_e32 v83, 0x3b00, v46
	v_add_f16_e32 v84, v40, v43
	v_add_f16_e32 v85, v68, v81
	v_sub_f16_e32 v40, v40, v43
	v_sub_f16_e32 v43, v68, v81
	v_add_f16_e32 v68, v47, v36
	v_add_f16_e32 v81, v69, v80
	v_add_f16_e64 v31, v131, v31
	v_add_f16_e64 v42, v132, v42
	v_mul_f16_e32 v74, 0x3a52, v115
	v_mul_f16_e32 v75, 0x3a52, v116
	;; [unrolled: 1-line block ×4, first 2 shown]
	v_sub_f16_e32 v36, v47, v36
	v_sub_f16_e32 v47, v69, v80
	v_add_f16_e32 v69, v38, v45
	v_add_f16_e32 v80, v70, v71
	v_sub_f16_e32 v38, v45, v38
	v_sub_f16_e32 v45, v71, v70
	v_add_f16_e32 v70, v41, v66
	v_add_f16_e32 v71, v102, v107
	v_sub_f16_e32 v41, v41, v66
	v_add_f16_e32 v92, v34, v37
	v_add_f16_e32 v93, v103, v106
	v_sub_f16_e32 v34, v34, v37
	v_sub_f16_e32 v37, v103, v106
	v_add_f16_e32 v94, v39, v32
	v_add_f16_e32 v95, v104, v105
	v_sub_f16_e32 v32, v32, v39
	v_sub_f16_e32 v39, v105, v104
	v_add_f16_e32 v30, v30, v72
	v_add_f16_e32 v91, v91, v73
	v_fmamk_f16 v97, v35, 0x3574, v78
	v_fmamk_f16 v98, v44, 0x3574, v79
	v_fma_f16 v33, v33, 0x3b00, -v78
	v_fma_f16 v46, v46, 0x3b00, -v79
	;; [unrolled: 1-line block ×4, first 2 shown]
	v_add_f16_e32 v78, v68, v84
	v_add_f16_e32 v79, v81, v85
	v_sub_f16_e32 v66, v102, v107
	v_fmamk_f16 v89, v89, 0x2b26, v74
	v_fmamk_f16 v96, v114, 0x2b26, v75
	v_fma_f16 v76, v129, 0x39e0, -v76
	v_fma_f16 v77, v130, 0x39e0, -v77
	v_sub_f16_e32 v82, v68, v84
	v_sub_f16_e32 v83, v81, v85
	;; [unrolled: 1-line block ×6, first 2 shown]
	v_add_f16_e32 v99, v38, v36
	v_add_f16_e32 v100, v45, v47
	v_sub_f16_e32 v101, v38, v36
	v_sub_f16_e32 v102, v45, v47
	;; [unrolled: 1-line block ×4, first 2 shown]
	v_add_f16_e32 v103, v92, v70
	v_add_f16_e32 v104, v93, v71
	v_sub_f16_e32 v105, v92, v70
	v_sub_f16_e32 v106, v93, v71
	;; [unrolled: 1-line block ×4, first 2 shown]
	v_add_f16_e32 v107, v32, v34
	v_sub_f16_e32 v109, v32, v34
	v_sub_f16_e32 v110, v39, v37
	;; [unrolled: 1-line block ×3, first 2 shown]
	v_fmamk_f16 v72, v72, 0xbcab, v30
	v_fmamk_f16 v73, v73, 0xbcab, v91
	v_fmac_f16_e32 v97, 0x370e, v31
	v_fmac_f16_e32 v98, 0x370e, v42
	;; [unrolled: 1-line block ×6, first 2 shown]
	v_add_f16_e32 v31, v69, v78
	v_add_f16_e32 v42, v80, v79
	v_fma_f16 v74, v129, 0xb9e0, -v74
	v_fma_f16 v75, v130, 0xb9e0, -v75
	v_sub_f16_e32 v92, v94, v92
	v_sub_f16_e32 v93, v95, v93
	v_add_f16_e32 v108, v39, v37
	v_sub_f16_e32 v37, v37, v66
	v_sub_f16_e32 v38, v40, v38
	;; [unrolled: 1-line block ×5, first 2 shown]
	v_pack_b32_f16 v30, v30, v91
	v_add_f16_e32 v40, v99, v40
	v_mul_f16_e32 v69, 0x3a52, v84
	v_mul_f16_e32 v78, 0x3a52, v85
	v_mul_f16_e32 v79, 0x2b26, v68
	v_mul_f16_e32 v80, 0x2b26, v81
	v_mul_f16_e32 v84, 0xb846, v101
	v_mul_f16_e32 v85, 0xb846, v102
	v_mul_f16_e32 v91, 0x3b00, v36
	v_mul_f16_e32 v99, 0x3b00, v47
	v_add_f16_e32 v94, v94, v103
	v_add_f16_e32 v95, v95, v104
	v_mul_f16_e32 v70, 0x3a52, v70
	v_mul_f16_e32 v71, 0x3a52, v71
	;; [unrolled: 1-line block ×5, first 2 shown]
	v_add_f16_e32 v89, v89, v72
	v_add_f16_e32 v96, v96, v73
	;; [unrolled: 1-line block ×8, first 2 shown]
	v_mul_f16_e32 v100, 0x2b26, v92
	v_mul_f16_e32 v101, 0x2b26, v93
	;; [unrolled: 1-line block ×3, first 2 shown]
	v_add_f16_e32 v72, v74, v72
	v_add_f16_e32 v73, v75, v73
	v_fmamk_f16 v68, v68, 0x2b26, v69
	v_fmamk_f16 v74, v81, 0x2b26, v78
	v_fma_f16 v75, v82, 0x39e0, -v79
	v_fma_f16 v79, v83, 0x39e0, -v80
	;; [unrolled: 1-line block ×4, first 2 shown]
	v_fmamk_f16 v80, v38, 0x3574, v84
	v_fmamk_f16 v81, v45, 0x3574, v85
	v_fma_f16 v38, v38, 0xb574, -v91
	v_fma_f16 v45, v45, 0xb574, -v99
	v_fmamk_f16 v82, v92, 0x2b26, v70
	v_fmamk_f16 v83, v93, 0x2b26, v71
	;; [unrolled: 1-line block ×4, first 2 shown]
	v_fma_f16 v34, v34, 0x3b00, -v102
	v_fma_f16 v37, v37, 0x3b00, -v103
	;; [unrolled: 1-line block ×3, first 2 shown]
	v_add_f16_e32 v93, v98, v89
	v_sub_f16_e32 v99, v96, v97
	v_sub_f16_e32 v102, v76, v46
	v_add_f16_e32 v103, v33, v77
	v_add_f16_e32 v46, v46, v76
	v_sub_f16_e32 v33, v77, v33
	v_fmamk_f16 v31, v31, 0xbcab, v65
	v_fmamk_f16 v42, v42, 0xbcab, v67
	v_add_f16_e32 v66, v108, v66
	v_fma_f16 v36, v36, 0x3b00, -v84
	v_fma_f16 v47, v47, 0x3b00, -v85
	v_add_f16_e32 v64, v64, v94
	v_add_f16_e32 v26, v26, v95
	v_fma_f16 v84, v105, 0x39e0, -v100
	v_fma_f16 v85, v106, 0x39e0, -v101
	;; [unrolled: 1-line block ×3, first 2 shown]
	v_add_f16_e32 v100, v44, v72
	v_sub_f16_e32 v101, v73, v35
	v_sub_f16_e32 v44, v72, v44
	v_add_f16_e32 v35, v35, v73
	v_sub_f16_e32 v72, v89, v98
	v_add_f16_e32 v73, v97, v96
	v_fmac_f16_e32 v80, 0x370e, v40
	v_fmac_f16_e32 v81, 0x370e, v43
	;; [unrolled: 1-line block ×5, first 2 shown]
	v_pack_b32_f16 v41, v65, v67
	v_pack_b32_f16 v65, v93, v99
	;; [unrolled: 1-line block ×3, first 2 shown]
	v_add_f16_e32 v46, v68, v31
	v_add_f16_e32 v68, v74, v42
	v_fmac_f16_e32 v36, 0x370e, v40
	v_fmac_f16_e32 v47, 0x370e, v43
	;; [unrolled: 1-line block ×4, first 2 shown]
	v_fmamk_f16 v40, v94, 0xbcab, v64
	v_fmamk_f16 v43, v95, 0xbcab, v26
	v_fmac_f16_e32 v92, 0x370e, v66
	v_fmac_f16_e32 v37, 0x370e, v66
	;; [unrolled: 1-line block ×3, first 2 shown]
	v_pack_b32_f16 v66, v100, v101
	v_pack_b32_f16 v67, v102, v103
	;; [unrolled: 1-line block ×4, first 2 shown]
	v_add_f16_e32 v72, v75, v31
	v_add_f16_e32 v73, v79, v42
	;; [unrolled: 1-line block ×4, first 2 shown]
	v_fma_f16 v70, v105, 0xb9e0, -v70
	v_fma_f16 v71, v106, 0xb9e0, -v71
	ds_store_2addr_b32 v86, v30, v65 offset1:40
	ds_store_2addr_b32 v86, v66, v67 offset0:80 offset1:120
	ds_store_2addr_b32 v86, v33, v35 offset0:160 offset1:200
	ds_store_b32 v86, v44 offset:960
	v_add_f16_e32 v30, v81, v46
	v_sub_f16_e32 v33, v68, v80
	v_add_f16_e32 v69, v82, v40
	v_add_f16_e32 v74, v83, v43
	;; [unrolled: 1-line block ×3, first 2 shown]
	v_sub_f16_e32 v44, v42, v38
	v_sub_f16_e32 v65, v72, v47
	v_add_f16_e32 v66, v36, v73
	v_add_f16_e32 v75, v84, v40
	;; [unrolled: 1-line block ×6, first 2 shown]
	v_sub_f16_e32 v36, v73, v36
	v_sub_f16_e32 v31, v31, v45
	v_add_f16_e32 v38, v38, v42
	v_sub_f16_e32 v42, v46, v81
	v_add_f16_e32 v45, v80, v68
	v_pack_b32_f16 v30, v30, v33
	v_add_f16_e32 v46, v92, v69
	v_sub_f16_e32 v67, v74, v91
	v_pack_b32_f16 v33, v35, v44
	v_pack_b32_f16 v35, v65, v66
	v_add_f16_e32 v68, v39, v40
	v_sub_f16_e32 v70, v43, v32
	v_sub_f16_e32 v71, v75, v37
	v_add_f16_e32 v72, v34, v76
	v_pack_b32_f16 v36, v47, v36
	v_pack_b32_f16 v31, v31, v38
	v_add_f16_e32 v37, v37, v75
	v_sub_f16_e32 v34, v76, v34
	v_sub_f16_e32 v39, v40, v39
	v_add_f16_e32 v32, v32, v43
	v_sub_f16_e32 v38, v69, v92
	v_add_f16_e32 v40, v91, v74
	ds_store_2addr_b32 v87, v41, v30 offset1:40
	ds_store_2addr_b32 v87, v33, v35 offset0:80 offset1:120
	ds_store_2addr_b32 v87, v36, v31 offset0:160 offset1:200
	v_pack_b32_f16 v30, v42, v45
	v_add3_u32 v31, 0, v88, v90
	v_pack_b32_f16 v26, v64, v26
	v_pack_b32_f16 v33, v46, v67
	;; [unrolled: 1-line block ×7, first 2 shown]
	ds_store_b32 v87, v30 offset:960
	ds_store_2addr_b32 v31, v26, v33 offset1:40
	ds_store_2addr_b32 v31, v35, v36 offset0:80 offset1:120
	ds_store_2addr_b32 v31, v34, v32 offset0:160 offset1:200
	ds_store_b32 v31, v37 offset:960
	s_and_saveexec_b32 s2, s1
	s_cbranch_execz .LBB0_27
; %bb.26:
	v_and_b32_e32 v26, 0xff, v17
	s_delay_alu instid0(VALU_DEP_1) | instskip(NEXT) | instid1(VALU_DEP_1)
	v_mul_lo_u16 v26, 0xcd, v26
	v_lshrrev_b16 v26, 13, v26
	s_delay_alu instid0(VALU_DEP_1) | instskip(NEXT) | instid1(VALU_DEP_1)
	v_mul_lo_u16 v26, v26, 40
	v_sub_nc_u16 v26, v17, v26
	s_delay_alu instid0(VALU_DEP_1) | instskip(NEXT) | instid1(VALU_DEP_1)
	v_and_b32_e32 v26, 0xff, v26
	v_mul_u32_u24_e32 v30, 6, v26
	v_lshl_add_u32 v26, v26, 2, 0
	s_delay_alu instid0(VALU_DEP_2) | instskip(NEXT) | instid1(VALU_DEP_2)
	v_lshlrev_b32_e32 v34, 2, v30
	v_add_nc_u32_e32 v36, 0x1000, v26
	v_add_nc_u32_e32 v37, 0x1400, v26
	s_clause 0x1
	global_load_b128 v[30:33], v34, s[4:5] offset:152
	global_load_b64 v[34:35], v34, s[4:5] offset:168
	s_wait_loadcnt 0x1
	v_lshrrev_b32_e32 v38, 16, v30
	v_lshrrev_b32_e32 v39, 16, v31
	s_wait_loadcnt 0x0
	v_lshrrev_b32_e32 v40, 16, v35
	v_lshrrev_b32_e32 v41, 16, v33
	;; [unrolled: 1-line block ×4, first 2 shown]
	v_mul_f16_e32 v44, v61, v38
	v_mul_f16_e32 v45, v63, v40
	;; [unrolled: 1-line block ×12, first 2 shown]
	v_fma_f16 v24, v24, v30, -v44
	v_fma_f16 v29, v29, v35, -v45
	;; [unrolled: 1-line block ×6, first 2 shown]
	v_fmac_f16_e32 v40, v63, v35
	v_fmac_f16_e32 v38, v61, v30
	;; [unrolled: 1-line block ×6, first 2 shown]
	v_sub_f16_e32 v1, v24, v29
	v_sub_f16_e32 v3, v23, v22
	v_add_f16_e32 v31, v38, v40
	v_add_f16_e32 v33, v39, v43
	;; [unrolled: 1-line block ×5, first 2 shown]
	v_sub_f16_e32 v30, v25, v28
	v_add_f16_e32 v32, v42, v41
	v_sub_f16_e32 v25, v38, v40
	v_sub_f16_e32 v28, v41, v42
	;; [unrolled: 1-line block ×3, first 2 shown]
	v_add_f16_e32 v40, v33, v31
	v_add_f16_e32 v43, v23, v24
	v_sub_f16_e32 v34, v1, v3
	v_sub_f16_e32 v35, v3, v30
	v_add_f16_e32 v3, v3, v30
	v_sub_f16_e32 v38, v31, v32
	v_sub_f16_e32 v39, v32, v33
	;; [unrolled: 1-line block ×6, first 2 shown]
	v_add_f16_e32 v28, v28, v29
	v_sub_f16_e32 v30, v30, v1
	v_add_f16_e32 v32, v32, v40
	v_add_f16_e32 v22, v22, v43
	v_sub_f16_e32 v23, v23, v24
	v_sub_f16_e32 v24, v29, v25
	v_mul_f16_e32 v29, 0xb846, v35
	v_add_f16_e32 v1, v3, v1
	v_mul_f16_e32 v3, 0x3a52, v38
	v_mul_f16_e32 v35, 0x3a52, v41
	;; [unrolled: 1-line block ×3, first 2 shown]
	v_add_f16_e32 v25, v28, v25
	v_mul_f16_e32 v28, 0x3b00, v30
	v_add_f16_e32 v20, v20, v32
	v_add_f16_e32 v12, v12, v22
	v_sub_f16_e32 v31, v33, v31
	v_mul_f16_e32 v33, 0x2b26, v39
	v_mul_f16_e32 v38, 0x2b26, v42
	v_mul_f16_e32 v41, 0x3b00, v24
	v_fmamk_f16 v43, v34, 0x3574, v29
	v_fmamk_f16 v39, v39, 0x2b26, v3
	v_fmamk_f16 v42, v42, 0x2b26, v35
	v_fmamk_f16 v45, v44, 0x3574, v40
	v_fma_f16 v28, v34, 0xb574, -v28
	v_fma_f16 v29, v30, 0x3b00, -v29
	v_fmamk_f16 v30, v32, 0xbcab, v20
	v_fmamk_f16 v22, v22, 0xbcab, v12
	v_fma_f16 v3, v31, 0xb9e0, -v3
	v_fma_f16 v34, v23, 0xb9e0, -v35
	;; [unrolled: 1-line block ×6, first 2 shown]
	v_fmac_f16_e32 v43, 0x370e, v1
	v_fmac_f16_e32 v45, 0x370e, v25
	;; [unrolled: 1-line block ×4, first 2 shown]
	v_pack_b32_f16 v1, v12, v20
	v_add_f16_e32 v12, v39, v30
	v_add_f16_e32 v20, v42, v22
	v_fmac_f16_e32 v35, 0x370e, v25
	v_fmac_f16_e32 v24, 0x370e, v25
	v_add_f16_e32 v3, v3, v30
	v_add_f16_e32 v25, v34, v22
	;; [unrolled: 1-line block ×5, first 2 shown]
	v_sub_f16_e32 v31, v20, v45
	v_sub_f16_e32 v12, v12, v43
	v_add_f16_e32 v20, v45, v20
	v_add_f16_e32 v32, v28, v3
	v_sub_f16_e32 v33, v30, v29
	v_add_f16_e32 v29, v29, v30
	v_sub_f16_e32 v3, v3, v28
	;; [unrolled: 2-line block ×4, first 2 shown]
	v_pack_b32_f16 v12, v20, v12
	v_pack_b32_f16 v3, v28, v3
	;; [unrolled: 1-line block ×6, first 2 shown]
	ds_store_2addr_b32 v36, v1, v12 offset0:96 offset1:136
	ds_store_2addr_b32 v36, v3, v20 offset0:176 offset1:216
	ds_store_2addr_b32 v37, v22, v24 offset1:40
	ds_store_b32 v26, v23 offset:5440
.LBB0_27:
	s_wait_alu 0xfffe
	s_or_b32 exec_lo, exec_lo, s2
	v_mov_b32_e32 v20, v27
	v_lshlrev_b32_e32 v26, 2, v2
	v_mov_b32_e32 v22, v27
	global_wb scope:SCOPE_SE
	s_wait_dscnt 0x0
	s_barrier_signal -1
	v_lshlrev_b64_e32 v[23:24], 2, v[19:20]
	v_lshlrev_b64_e32 v[25:26], 2, v[26:27]
	;; [unrolled: 1-line block ×3, first 2 shown]
	s_barrier_wait -1
	global_inv scope:SCOPE_SE
	v_add_nc_u32_e32 v12, 0x1000, v48
	v_add_co_u32 v23, s1, s4, v23
	s_wait_alu 0xf1ff
	v_add_co_ci_u32_e64 v24, s1, s5, v24, s1
	v_add_co_u32 v22, s1, s4, v25
	v_add_nc_u32_e32 v25, 0xc00, v48
	global_load_b128 v[31:34], v[23:24], off offset:1112
	s_wait_alu 0xf1ff
	v_add_co_ci_u32_e64 v23, s1, s5, v26, s1
	v_add_co_u32 v20, s1, s4, v20
	v_lshlrev_b32_e32 v26, 2, v18
	s_wait_alu 0xf1ff
	v_add_co_ci_u32_e64 v21, s1, s5, v21, s1
	s_clause 0x1
	global_load_b128 v[35:38], v[22:23], off offset:1112
	global_load_b128 v[39:42], v[20:21], off offset:1112
	v_add_nc_u32_e32 v23, 0x800, v48
	v_lshlrev_b64_e32 v[20:21], 2, v[26:27]
	v_lshlrev_b32_e32 v26, 2, v17
	ds_load_b32 v47, v53
	s_mov_b32 s2, exec_lo
	v_add_co_u32 v20, s1, s4, v20
	s_wait_alu 0xf1ff
	v_add_co_ci_u32_e64 v21, s1, s5, v21, s1
	global_load_b128 v[43:46], v[20:21], off offset:1112
	v_lshlrev_b64_e32 v[20:21], 2, v[26:27]
	s_delay_alu instid0(VALU_DEP_1) | instskip(SKIP_1) | instid1(VALU_DEP_2)
	v_add_co_u32 v20, s1, s4, v20
	s_wait_alu 0xf1ff
	v_add_co_ci_u32_e64 v21, s1, s5, v21, s1
	s_wait_dscnt 0x0
	v_lshrrev_b32_e32 v84, 16, v47
	global_load_b128 v[60:63], v[20:21], off offset:1112
	v_add_nc_u32_e32 v21, 0x400, v48
	ds_load_b32 v24, v48
	ds_load_b32 v22, v51
	;; [unrolled: 1-line block ×6, first 2 shown]
	ds_load_2addr_b32 v[64:65], v12 offset0:40 offset1:96
	ds_load_2addr_b32 v[66:67], v21 offset0:80 offset1:136
	;; [unrolled: 1-line block ×5, first 2 shown]
	v_add_nc_u32_e32 v12, 0xa00, v48
	v_add_nc_u32_e32 v23, 0x1400, v48
	ds_load_2addr_b32 v[74:75], v25 offset0:184 offset1:240
	ds_load_2addr_b32 v[76:77], v21 offset0:192 offset1:248
	;; [unrolled: 1-line block ×4, first 2 shown]
	global_wb scope:SCOPE_SE
	s_wait_loadcnt_dscnt 0x0
	s_barrier_signal -1
	s_barrier_wait -1
	global_inv scope:SCOPE_SE
	v_lshrrev_b32_e32 v26, 16, v24
	v_lshrrev_b32_e32 v25, 16, v22
	;; [unrolled: 1-line block ×28, first 2 shown]
	s_delay_alu instid0(VALU_DEP_4)
	v_mul_f16_e32 v111, v27, v83
	v_mul_f16_e32 v112, v27, v82
	;; [unrolled: 1-line block ×4, first 2 shown]
	v_lshrrev_b32_e32 v103, 16, v35
	v_lshrrev_b32_e32 v104, 16, v36
	;; [unrolled: 1-line block ×8, first 2 shown]
	v_mul_f16_e32 v115, v29, v102
	v_mul_f16_e32 v116, v29, v70
	;; [unrolled: 1-line block ×12, first 2 shown]
	v_lshrrev_b32_e32 v123, 16, v43
	v_lshrrev_b32_e32 v124, 16, v44
	;; [unrolled: 1-line block ×4, first 2 shown]
	v_mul_f16_e32 v127, v98, v107
	v_mul_f16_e32 v27, v77, v107
	;; [unrolled: 1-line block ×8, first 2 shown]
	v_fma_f16 v82, v31, v82, -v111
	v_fmac_f16_e32 v112, v31, v83
	v_fma_f16 v47, v32, v47, -v113
	v_fmac_f16_e32 v114, v32, v84
	;; [unrolled: 2-line block ×8, first 2 shown]
	v_mul_f16_e32 v38, v90, v123
	v_mul_f16_e32 v68, v67, v123
	;; [unrolled: 1-line block ×8, first 2 shown]
	v_lshrrev_b32_e32 v87, 16, v60
	v_lshrrev_b32_e32 v88, 16, v61
	;; [unrolled: 1-line block ×4, first 2 shown]
	v_fma_f16 v33, v77, v39, -v127
	v_fmac_f16_e32 v27, v98, v39
	v_fma_f16 v31, v79, v40, -v107
	v_fmac_f16_e32 v29, v99, v40
	v_fma_f16 v32, v64, v41, -v108
	v_fmac_f16_e32 v30, v100, v41
	v_fma_f16 v34, v81, v42, -v109
	v_fmac_f16_e32 v28, v101, v42
	v_fma_f16 v38, v67, v43, -v38
	v_fmac_f16_e32 v68, v90, v43
	v_fma_f16 v39, v69, v44, -v71
	v_fmac_f16_e32 v72, v91, v44
	v_fma_f16 v40, v74, v45, -v83
	v_fmac_f16_e32 v84, v92, v45
	v_fma_f16 v41, v73, v46, -v85
	v_fmac_f16_e32 v86, v93, v46
	v_mul_f16_e32 v42, v94, v87
	v_mul_f16_e32 v43, v76, v87
	;; [unrolled: 1-line block ×8, first 2 shown]
	v_add_f16_e32 v71, v24, v82
	v_add_f16_e32 v73, v47, v70
	;; [unrolled: 1-line block ×3, first 2 shown]
	v_sub_f16_e32 v85, v47, v82
	v_sub_f16_e32 v87, v70, v65
	v_add_f16_e32 v88, v26, v112
	v_add_f16_e32 v89, v114, v116
	v_sub_f16_e32 v91, v112, v114
	v_sub_f16_e32 v92, v118, v116
	v_add_f16_e32 v93, v112, v118
	v_sub_f16_e32 v98, v114, v112
	v_sub_f16_e32 v99, v116, v118
	;; [unrolled: 1-line block ×3, first 2 shown]
	v_add_f16_e32 v113, v25, v103
	v_sub_f16_e32 v119, v103, v104
	v_add_f16_e32 v121, v103, v106
	v_sub_f16_e32 v103, v104, v103
	v_sub_f16_e32 v122, v105, v106
	;; [unrolled: 1-line block ×7, first 2 shown]
	v_fma_f16 v42, v76, v60, -v42
	v_fmac_f16_e32 v43, v94, v60
	v_fma_f16 v44, v78, v61, -v44
	v_fmac_f16_e32 v45, v95, v61
	v_fma_f16 v46, v75, v62, -v46
	v_fma_f16 v60, v80, v63, -v67
	v_fmac_f16_e32 v69, v97, v63
	v_add_f16_e32 v47, v71, v47
	v_fma_f16 v61, -0.5, v73, v24
	v_fmac_f16_e32 v24, -0.5, v83
	v_add_f16_e32 v63, v85, v87
	v_add_f16_e32 v67, v88, v114
	v_fma_f16 v71, -0.5, v89, v26
	v_add_f16_e32 v73, v91, v92
	v_fmac_f16_e32 v26, -0.5, v93
	v_add_f16_e32 v75, v98, v99
	v_add_f16_e32 v85, v103, v122
	;; [unrolled: 1-line block ×4, first 2 shown]
	v_sub_f16_e32 v92, v38, v39
	v_sub_f16_e32 v93, v41, v40
	v_add_f16_e32 v98, v72, v84
	v_add_f16_e32 v103, v68, v86
	v_sub_f16_e32 v74, v112, v118
	v_add_f16_e32 v100, v22, v66
	v_fmac_f16_e32 v64, v96, v62
	v_add_f16_e32 v78, v108, v109
	v_sub_f16_e32 v95, v39, v38
	v_sub_f16_e32 v96, v40, v41
	v_add_f16_e32 v97, v23, v68
	v_sub_f16_e32 v99, v39, v40
	v_fmamk_f16 v108, v77, 0xbb9c, v24
	v_fmac_f16_e32 v24, 0x3b9c, v77
	v_add_f16_e32 v39, v87, v39
	v_fma_f16 v87, -0.5, v88, v20
	v_add_f16_e32 v88, v92, v93
	v_fma_f16 v93, -0.5, v98, v23
	v_fmac_f16_e32 v23, -0.5, v103
	v_sub_f16_e32 v81, v65, v70
	v_sub_f16_e32 v82, v82, v65
	v_add_f16_e32 v101, v35, v36
	v_sub_f16_e32 v107, v104, v105
	v_sub_f16_e32 v111, v35, v66
	v_add_f16_e32 v115, v104, v105
	v_sub_f16_e32 v117, v35, v36
	v_add_f16_e32 v35, v100, v35
	v_add_f16_e32 v80, v113, v104
	v_sub_f16_e32 v89, v68, v86
	v_add_f16_e32 v94, v38, v41
	v_sub_f16_e32 v38, v38, v41
	v_sub_f16_e32 v100, v68, v72
	;; [unrolled: 1-line block ×4, first 2 shown]
	v_add_f16_e32 v47, v47, v70
	v_fmamk_f16 v70, v74, 0x3b9c, v61
	v_fmac_f16_e32 v61, 0xbb9c, v74
	v_add_f16_e32 v92, v95, v96
	v_add_f16_e32 v95, v3, v42
	v_fmac_f16_e32 v108, 0x38b4, v74
	v_fmac_f16_e32 v24, 0xb8b4, v74
	v_fmamk_f16 v74, v99, 0x3b9c, v23
	v_fmac_f16_e32 v23, 0xbb9c, v99
	v_add_f16_e32 v110, v66, v37
	v_add_f16_e32 v62, v79, v81
	v_fma_f16 v76, -0.5, v101, v22
	v_fma_f16 v81, -0.5, v115, v25
	v_sub_f16_e32 v91, v72, v84
	v_sub_f16_e32 v101, v86, v84
	v_add_f16_e32 v67, v67, v116
	v_fmamk_f16 v109, v82, 0xbb9c, v71
	v_fmac_f16_e32 v71, 0x3b9c, v82
	v_add_f16_e32 v72, v97, v72
	v_add_f16_e32 v68, v68, v104
	;; [unrolled: 1-line block ×4, first 2 shown]
	v_fmac_f16_e32 v70, 0x38b4, v77
	v_fmac_f16_e32 v61, 0xb8b4, v77
	v_add_f16_e32 v77, v95, v44
	v_fmac_f16_e32 v74, 0xb8b4, v38
	v_fmac_f16_e32 v23, 0x38b4, v38
	v_fmac_f16_e32 v22, -0.5, v110
	v_fmamk_f16 v110, v90, 0x3b9c, v26
	v_fmac_f16_e32 v26, 0xbb9c, v90
	v_fmac_f16_e32 v20, -0.5, v94
	v_add_f16_e32 v94, v100, v101
	v_sub_f16_e32 v100, v42, v44
	v_add_f16_e32 v103, v42, v60
	v_sub_f16_e32 v104, v44, v42
	v_add_f16_e32 v47, v47, v65
	v_add_f16_e32 v65, v67, v118
	v_fmac_f16_e32 v109, 0xb8b4, v90
	v_fmac_f16_e32 v71, 0x38b4, v90
	v_add_f16_e32 v39, v39, v40
	v_add_f16_e32 v67, v72, v84
	v_fmamk_f16 v72, v38, 0xbb9c, v93
	v_fmac_f16_e32 v93, 0x3b9c, v38
	v_add_f16_e32 v90, v114, v45
	v_fma_f16 v95, -0.5, v115, v21
	v_add_f16_e32 v38, v77, v46
	v_fmac_f16_e32 v74, 0x34f2, v68
	v_fmac_f16_e32 v23, 0x34f2, v68
	v_sub_f16_e32 v42, v42, v60
	v_add_f16_e32 v68, v43, v69
	v_add_f16_e32 v96, v44, v46
	v_sub_f16_e32 v97, v43, v69
	v_sub_f16_e32 v98, v45, v64
	;; [unrolled: 1-line block ×4, first 2 shown]
	v_fmac_f16_e32 v109, 0x34f2, v73
	v_fmac_f16_e32 v71, 0x34f2, v73
	v_add_f16_e32 v39, v39, v41
	v_add_f16_e32 v41, v67, v86
	;; [unrolled: 1-line block ×4, first 2 shown]
	v_fmamk_f16 v67, v42, 0xbb9c, v95
	v_sub_f16_e32 v44, v44, v46
	v_sub_f16_e32 v46, v43, v45
	;; [unrolled: 1-line block ×3, first 2 shown]
	v_fmac_f16_e32 v21, -0.5, v68
	v_fmac_f16_e32 v95, 0x3b9c, v42
	v_sub_f16_e32 v43, v45, v43
	v_sub_f16_e32 v45, v64, v69
	v_add_f16_e32 v64, v31, v32
	v_fmac_f16_e32 v110, 0xb8b4, v82
	v_fmac_f16_e32 v26, 0x38b4, v82
	;; [unrolled: 1-line block ×3, first 2 shown]
	v_add_f16_e32 v46, v46, v73
	v_fmamk_f16 v68, v44, 0x3b9c, v21
	v_fmac_f16_e32 v95, 0x38b4, v44
	v_add_f16_e32 v43, v43, v45
	v_fmac_f16_e32 v21, 0xbb9c, v44
	v_add_f16_e32 v44, v1, v33
	v_fma_f16 v45, -0.5, v64, v1
	v_sub_f16_e32 v64, v27, v28
	v_fmac_f16_e32 v110, 0x34f2, v75
	v_fmac_f16_e32 v26, 0x34f2, v75
	v_add_f16_e32 v60, v60, v69
	v_fmac_f16_e32 v67, 0x34f2, v46
	v_fmac_f16_e32 v68, 0xb8b4, v42
	;; [unrolled: 1-line block ×4, first 2 shown]
	v_add_f16_e32 v42, v44, v31
	v_fmamk_f16 v44, v64, 0x3b9c, v45
	v_sub_f16_e32 v46, v29, v30
	v_sub_f16_e32 v69, v33, v31
	;; [unrolled: 1-line block ×3, first 2 shown]
	v_fmac_f16_e32 v45, 0xbb9c, v64
	v_add_f16_e32 v75, v33, v34
	v_add_f16_e32 v42, v42, v32
	v_fmac_f16_e32 v44, 0x38b4, v46
	v_add_f16_e32 v69, v69, v73
	v_fmac_f16_e32 v45, 0xb8b4, v46
	v_fmac_f16_e32 v1, -0.5, v75
	v_sub_f16_e32 v73, v31, v33
	v_sub_f16_e32 v75, v32, v34
	v_fmac_f16_e32 v68, 0x34f2, v43
	v_fmac_f16_e32 v21, 0x34f2, v43
	v_add_f16_e32 v42, v42, v34
	v_fmac_f16_e32 v44, 0x34f2, v69
	v_fmac_f16_e32 v45, 0x34f2, v69
	v_fmamk_f16 v43, v46, 0xbb9c, v1
	v_add_f16_e32 v69, v29, v30
	v_fmac_f16_e32 v1, 0x3b9c, v46
	v_sub_f16_e32 v33, v33, v34
	v_add_f16_e32 v34, v73, v75
	v_add_f16_e32 v73, v27, v28
	;; [unrolled: 1-line block ×3, first 2 shown]
	v_fma_f16 v69, -0.5, v69, v12
	v_fmac_f16_e32 v43, 0x38b4, v64
	v_fmac_f16_e32 v1, 0xb8b4, v64
	v_sub_f16_e32 v31, v31, v32
	v_fmac_f16_e32 v12, -0.5, v73
	v_sub_f16_e32 v66, v66, v37
	v_sub_f16_e32 v112, v36, v37
	v_fmac_f16_e32 v25, -0.5, v121
	v_add_f16_e32 v46, v46, v29
	v_fmac_f16_e32 v43, 0x34f2, v34
	v_fmac_f16_e32 v1, 0x34f2, v34
	v_sub_f16_e32 v34, v27, v29
	v_fmamk_f16 v73, v31, 0x3b9c, v12
	v_sub_f16_e32 v27, v29, v27
	v_sub_f16_e32 v29, v30, v28
	v_fmac_f16_e32 v12, 0xbb9c, v31
	v_sub_f16_e32 v120, v106, v105
	v_add_f16_e32 v35, v35, v36
	v_fmamk_f16 v36, v102, 0x3b9c, v76
	v_add_f16_e32 v80, v80, v105
	v_fmamk_f16 v105, v66, 0xbb9c, v81
	;; [unrolled: 2-line block ×3, first 2 shown]
	v_fmamk_f16 v112, v117, 0x3b9c, v25
	v_fmac_f16_e32 v25, 0xbb9c, v117
	v_fmamk_f16 v64, v33, 0xbb9c, v69
	v_add_f16_e32 v32, v46, v30
	v_sub_f16_e32 v46, v28, v30
	v_fmac_f16_e32 v69, 0x3b9c, v33
	v_fmac_f16_e32 v22, 0x3b9c, v107
	;; [unrolled: 1-line block ×5, first 2 shown]
	v_add_f16_e32 v27, v27, v29
	v_fmac_f16_e32 v12, 0x38b4, v33
	v_add_f16_e32 v83, v119, v120
	v_add_f16_e32 v35, v35, v37
	v_fmac_f16_e32 v36, 0x38b4, v107
	v_add_f16_e32 v37, v80, v106
	v_fmac_f16_e32 v105, 0xb8b4, v117
	v_fmamk_f16 v40, v89, 0x3b9c, v87
	v_fma_f16 v80, -0.5, v96, v3
	v_fmac_f16_e32 v70, 0x34f2, v62
	v_fmac_f16_e32 v111, 0x38b4, v102
	;; [unrolled: 1-line block ×4, first 2 shown]
	v_fmamk_f16 v66, v91, 0xbb9c, v20
	v_fmac_f16_e32 v3, -0.5, v103
	v_fmac_f16_e32 v108, 0x34f2, v63
	v_fmac_f16_e32 v64, 0xb8b4, v31
	v_add_f16_e32 v30, v34, v46
	v_fmac_f16_e32 v69, 0x38b4, v31
	v_fmac_f16_e32 v22, 0xb8b4, v102
	;; [unrolled: 1-line block ×10, first 2 shown]
	v_pack_b32_f16 v27, v47, v65
	v_fmac_f16_e32 v36, 0x34f2, v78
	v_fmac_f16_e32 v105, 0x34f2, v83
	;; [unrolled: 1-line block ×4, first 2 shown]
	v_fmamk_f16 v62, v97, 0x3b9c, v80
	v_pack_b32_f16 v29, v70, v109
	v_fmac_f16_e32 v111, 0x34f2, v79
	v_fmac_f16_e32 v112, 0x34f2, v85
	;; [unrolled: 1-line block ×3, first 2 shown]
	v_fmamk_f16 v63, v98, 0xbb9c, v3
	v_fmac_f16_e32 v64, 0x34f2, v30
	v_fmac_f16_e32 v69, 0x34f2, v30
	v_pack_b32_f16 v30, v108, v110
	v_fmac_f16_e32 v22, 0x34f2, v79
	v_fmac_f16_e32 v25, 0x34f2, v85
	;; [unrolled: 1-line block ×4, first 2 shown]
	v_pack_b32_f16 v24, v24, v26
	v_fmac_f16_e32 v76, 0x34f2, v78
	v_fmac_f16_e32 v81, 0x34f2, v83
	v_fmac_f16_e32 v87, 0xb8b4, v91
	v_fmac_f16_e32 v93, 0x38b4, v99
	v_fmac_f16_e32 v80, 0xbb9c, v97
	v_pack_b32_f16 v26, v61, v71
	ds_store_b32 v48, v27
	ds_store_b32 v48, v29 offset:1120
	ds_store_b32 v48, v30 offset:2240
	;; [unrolled: 1-line block ×4, first 2 shown]
	v_pack_b32_f16 v24, v35, v37
	v_add_f16_e32 v82, v100, v101
	v_fmac_f16_e32 v40, 0x34f2, v88
	v_fmac_f16_e32 v72, 0x34f2, v94
	;; [unrolled: 1-line block ×3, first 2 shown]
	v_pack_b32_f16 v26, v36, v105
	v_add_f16_e32 v84, v104, v113
	v_fmac_f16_e32 v66, 0x34f2, v92
	v_fmac_f16_e32 v63, 0x38b4, v97
	v_pack_b32_f16 v27, v111, v112
	v_fmac_f16_e32 v20, 0x34f2, v92
	v_fmac_f16_e32 v3, 0xb8b4, v97
	v_pack_b32_f16 v22, v22, v25
	v_fmac_f16_e32 v87, 0x34f2, v88
	v_fmac_f16_e32 v93, 0x34f2, v94
	;; [unrolled: 1-line block ×3, first 2 shown]
	v_pack_b32_f16 v25, v76, v81
	ds_store_b32 v51, v24
	ds_store_b32 v51, v26 offset:1120
	ds_store_b32 v51, v27 offset:2240
	ds_store_b32 v51, v22 offset:3360
	ds_store_b32 v51, v25 offset:4480
	v_pack_b32_f16 v22, v39, v41
	v_fmac_f16_e32 v62, 0x34f2, v82
	v_pack_b32_f16 v24, v40, v72
	v_fmac_f16_e32 v63, 0x34f2, v84
	;; [unrolled: 2-line block ×4, first 2 shown]
	v_pack_b32_f16 v23, v87, v93
	v_add_f16_e32 v28, v32, v28
	ds_store_b32 v50, v22
	ds_store_b32 v50, v24 offset:1120
	ds_store_b32 v50, v25 offset:2240
	ds_store_b32 v50, v20 offset:3360
	ds_store_b32 v50, v23 offset:4480
	v_pack_b32_f16 v20, v38, v60
	v_pack_b32_f16 v22, v62, v67
	;; [unrolled: 1-line block ×5, first 2 shown]
	ds_store_b32 v5, v20
	ds_store_b32 v5, v22 offset:1120
	ds_store_b32 v5, v23 offset:2240
	;; [unrolled: 1-line block ×4, first 2 shown]
	v_pack_b32_f16 v3, v42, v28
	v_pack_b32_f16 v20, v44, v64
	;; [unrolled: 1-line block ×5, first 2 shown]
	ds_store_b32 v59, v3
	ds_store_b32 v59, v20 offset:1120
	ds_store_b32 v59, v21 offset:2240
	;; [unrolled: 1-line block ×4, first 2 shown]
	global_wb scope:SCOPE_SE
	s_wait_dscnt 0x0
	s_barrier_signal -1
	s_barrier_wait -1
	global_inv scope:SCOPE_SE
	ds_load_b32 v3, v48
	v_sub_nc_u32_e32 v20, 0, v19
                                        ; implicit-def: $vgpr21
                                        ; implicit-def: $vgpr12
                                        ; implicit-def: $vgpr1
	s_wait_dscnt 0x0
	v_lshrrev_b32_e32 v19, 16, v3
	v_cmpx_ne_u32_e32 0, v0
	s_wait_alu 0xfffe
	s_xor_b32 s2, exec_lo, s2
	s_cbranch_execz .LBB0_29
; %bb.28:
	v_mov_b32_e32 v1, 0
	s_delay_alu instid0(VALU_DEP_1)
	v_lshlrev_b64_e32 v[21:22], 2, v[0:1]
	ds_load_b32 v1, v20 offset:5600
	v_add_co_u32 v21, s1, s4, v21
	s_wait_alu 0xf1ff
	v_add_co_ci_u32_e64 v22, s1, s5, v22, s1
	global_load_b32 v21, v[21:22], off offset:5592
	s_wait_dscnt 0x0
	v_lshrrev_b32_e32 v12, 16, v1
	v_sub_f16_e32 v22, v3, v1
	v_add_f16_e32 v1, v1, v3
	s_delay_alu instid0(VALU_DEP_3) | instskip(SKIP_1) | instid1(VALU_DEP_4)
	v_add_f16_e32 v23, v12, v19
	v_sub_f16_e32 v12, v19, v12
	v_mul_f16_e32 v19, 0.5, v22
	s_delay_alu instid0(VALU_DEP_3) | instskip(NEXT) | instid1(VALU_DEP_3)
	v_mul_f16_e32 v3, 0.5, v23
	v_mul_f16_e32 v12, 0.5, v12
	s_wait_loadcnt 0x0
	v_lshrrev_b32_e32 v22, 16, v21
	s_delay_alu instid0(VALU_DEP_1) | instskip(NEXT) | instid1(VALU_DEP_3)
	v_mul_f16_e32 v23, v22, v19
	v_fma_f16 v24, v3, v22, v12
	v_fma_f16 v22, v3, v22, -v12
	s_delay_alu instid0(VALU_DEP_3) | instskip(SKIP_1) | instid1(VALU_DEP_4)
	v_fma_f16 v25, 0.5, v1, v23
	v_fma_f16 v23, v1, 0.5, -v23
	v_fma_f16 v1, -v21, v19, v24
	s_delay_alu instid0(VALU_DEP_3) | instskip(NEXT) | instid1(VALU_DEP_3)
	v_fmac_f16_e32 v25, v21, v3
	v_fma_f16 v12, -v21, v3, v23
	v_fma_f16 v21, -v21, v19, v22
                                        ; implicit-def: $vgpr19
                                        ; implicit-def: $vgpr3
	ds_store_b16 v48, v25
.LBB0_29:
	s_wait_alu 0xfffe
	s_and_not1_saveexec_b32 s1, s2
	s_cbranch_execz .LBB0_31
; %bb.30:
	v_mov_b32_e32 v1, 0
	v_add_f16_e32 v22, v19, v3
	v_sub_f16_e32 v12, v3, v19
	ds_load_u16 v21, v1 offset:2802
	s_wait_dscnt 0x0
	v_xor_b32_e32 v3, 0x8000, v21
	v_mov_b32_e32 v21, 0
	ds_store_b16 v48, v22
	ds_store_b16 v1, v3 offset:2802
.LBB0_31:
	s_wait_alu 0xfffe
	s_or_b32 exec_lo, exec_lo, s1
	v_mov_b32_e32 v3, 0
	v_perm_b32 v12, v21, v12, 0x5040100
	ds_store_b16 v48, v1 offset:2
	v_lshlrev_b64_e32 v[22:23], 2, v[2:3]
	v_mov_b32_e32 v19, v3
	ds_store_b32 v20, v12 offset:5600
	v_mov_b32_e32 v12, v3
	v_add_co_u32 v22, s1, s4, v22
	s_wait_alu 0xf1ff
	v_add_co_ci_u32_e64 v23, s1, s5, v23, s1
	v_lshlrev_b64_e32 v[18:19], 2, v[18:19]
	global_load_b32 v22, v[22:23], off offset:5592
	v_add_co_u32 v18, s1, s4, v18
	s_wait_alu 0xf1ff
	v_add_co_ci_u32_e64 v19, s1, s5, v19, s1
	global_load_b32 v19, v[18:19], off offset:5592
	v_mov_b32_e32 v18, v3
	s_delay_alu instid0(VALU_DEP_1) | instskip(NEXT) | instid1(VALU_DEP_1)
	v_lshlrev_b64_e32 v[17:18], 2, v[17:18]
	v_add_co_u32 v17, s1, s4, v17
	s_wait_alu 0xf1ff
	s_delay_alu instid0(VALU_DEP_2) | instskip(SKIP_2) | instid1(VALU_DEP_1)
	v_add_co_ci_u32_e64 v18, s1, s5, v18, s1
	global_load_b32 v18, v[17:18], off offset:5592
	v_mov_b32_e32 v17, v3
	v_lshlrev_b64_e32 v[16:17], 2, v[16:17]
	s_delay_alu instid0(VALU_DEP_1) | instskip(SKIP_1) | instid1(VALU_DEP_2)
	v_add_co_u32 v16, s1, s4, v16
	s_wait_alu 0xf1ff
	v_add_co_ci_u32_e64 v17, s1, s5, v17, s1
	global_load_b32 v17, v[16:17], off offset:5592
	v_mov_b32_e32 v16, v3
	s_delay_alu instid0(VALU_DEP_1) | instskip(NEXT) | instid1(VALU_DEP_1)
	v_lshlrev_b64_e32 v[15:16], 2, v[15:16]
	v_add_co_u32 v15, s1, s4, v15
	s_wait_alu 0xf1ff
	s_delay_alu instid0(VALU_DEP_2) | instskip(SKIP_2) | instid1(VALU_DEP_1)
	v_add_co_ci_u32_e64 v16, s1, s5, v16, s1
	global_load_b32 v16, v[15:16], off offset:5592
	v_mov_b32_e32 v15, v3
	v_lshlrev_b64_e32 v[1:2], 2, v[14:15]
	ds_load_b32 v15, v51
	ds_load_b32 v21, v20 offset:5376
	v_mov_b32_e32 v14, v3
	v_add_co_u32 v1, s1, s4, v1
	s_wait_alu 0xf1ff
	v_add_co_ci_u32_e64 v2, s1, s5, v2, s1
	global_load_b32 v23, v[1:2], off offset:5592
	v_lshlrev_b64_e32 v[1:2], 2, v[11:12]
	v_lshlrev_b64_e32 v[11:12], 2, v[13:14]
	s_delay_alu instid0(VALU_DEP_2)
	v_add_co_u32 v1, s1, s4, v1
	s_wait_dscnt 0x0
	v_pk_add_f16 v13, v15, v21 neg_lo:[0,1] neg_hi:[0,1]
	v_pk_add_f16 v14, v15, v21
	s_wait_alu 0xf1ff
	v_add_co_ci_u32_e64 v2, s1, s5, v2, s1
	v_add_co_u32 v11, s1, s4, v11
	s_delay_alu instid0(VALU_DEP_3) | instskip(SKIP_3) | instid1(VALU_DEP_3)
	v_bfi_b32 v15, 0xffff, v13, v14
	v_bfi_b32 v13, 0xffff, v14, v13
	s_wait_alu 0xf1ff
	v_add_co_ci_u32_e64 v12, s1, s5, v12, s1
	v_pk_mul_f16 v14, v15, 0.5 op_sel_hi:[1,0]
	s_delay_alu instid0(VALU_DEP_3)
	v_pk_mul_f16 v13, v13, 0.5 op_sel_hi:[1,0]
	s_clause 0x1
	global_load_b32 v15, v[1:2], off offset:5592
	global_load_b32 v12, v[11:12], off offset:5592
	s_wait_loadcnt 0x7
	v_pk_fma_f16 v1, v22, v14, v13 op_sel:[1,0,0]
	v_pk_mul_f16 v2, v22, v14 op_sel_hi:[0,1]
	v_pk_fma_f16 v11, v22, v14, v13 op_sel:[1,0,0] neg_lo:[1,0,0] neg_hi:[1,0,0]
	v_pk_fma_f16 v13, v22, v14, v13 op_sel:[1,0,0] neg_lo:[0,0,1] neg_hi:[0,0,1]
	s_delay_alu instid0(VALU_DEP_3) | instskip(SKIP_1) | instid1(VALU_DEP_4)
	v_pk_add_f16 v14, v1, v2 op_sel:[0,1] op_sel_hi:[1,0]
	v_pk_add_f16 v1, v1, v2 op_sel:[0,1] op_sel_hi:[1,0] neg_lo:[0,1] neg_hi:[0,1]
	v_pk_add_f16 v11, v11, v2 op_sel:[0,1] op_sel_hi:[1,0] neg_lo:[0,1] neg_hi:[0,1]
	s_delay_alu instid0(VALU_DEP_4) | instskip(NEXT) | instid1(VALU_DEP_3)
	v_pk_add_f16 v2, v13, v2 op_sel:[0,1] op_sel_hi:[1,0] neg_lo:[0,1] neg_hi:[0,1]
	v_bfi_b32 v1, 0xffff, v14, v1
	s_delay_alu instid0(VALU_DEP_2)
	v_bfi_b32 v2, 0xffff, v11, v2
	ds_store_b32 v51, v1
	ds_store_b32 v20, v2 offset:5376
	ds_load_b32 v1, v50
	ds_load_b32 v2, v20 offset:5152
	s_wait_dscnt 0x0
	v_pk_add_f16 v11, v1, v2 neg_lo:[0,1] neg_hi:[0,1]
	v_pk_add_f16 v1, v1, v2
	s_delay_alu instid0(VALU_DEP_1) | instskip(SKIP_1) | instid1(VALU_DEP_2)
	v_bfi_b32 v2, 0xffff, v11, v1
	v_bfi_b32 v1, 0xffff, v1, v11
	v_pk_mul_f16 v2, v2, 0.5 op_sel_hi:[1,0]
	s_delay_alu instid0(VALU_DEP_2) | instskip(SKIP_1) | instid1(VALU_DEP_2)
	v_pk_mul_f16 v1, v1, 0.5 op_sel_hi:[1,0]
	s_wait_loadcnt 0x6
	v_pk_mul_f16 v13, v19, v2 op_sel_hi:[0,1]
	s_delay_alu instid0(VALU_DEP_2) | instskip(SKIP_2) | instid1(VALU_DEP_3)
	v_pk_fma_f16 v11, v19, v2, v1 op_sel:[1,0,0]
	v_pk_fma_f16 v14, v19, v2, v1 op_sel:[1,0,0] neg_lo:[1,0,0] neg_hi:[1,0,0]
	v_pk_fma_f16 v1, v19, v2, v1 op_sel:[1,0,0] neg_lo:[0,0,1] neg_hi:[0,0,1]
	v_pk_add_f16 v2, v11, v13 op_sel:[0,1] op_sel_hi:[1,0]
	v_pk_add_f16 v11, v11, v13 op_sel:[0,1] op_sel_hi:[1,0] neg_lo:[0,1] neg_hi:[0,1]
	s_delay_alu instid0(VALU_DEP_4) | instskip(NEXT) | instid1(VALU_DEP_4)
	v_pk_add_f16 v14, v14, v13 op_sel:[0,1] op_sel_hi:[1,0] neg_lo:[0,1] neg_hi:[0,1]
	v_pk_add_f16 v1, v1, v13 op_sel:[0,1] op_sel_hi:[1,0] neg_lo:[0,1] neg_hi:[0,1]
	s_delay_alu instid0(VALU_DEP_3) | instskip(NEXT) | instid1(VALU_DEP_2)
	v_bfi_b32 v2, 0xffff, v2, v11
	v_bfi_b32 v1, 0xffff, v14, v1
	ds_store_b32 v50, v2
	ds_store_b32 v20, v1 offset:5152
	ds_load_b32 v1, v5
	ds_load_b32 v2, v20 offset:4928
	s_wait_dscnt 0x0
	v_pk_add_f16 v11, v1, v2 neg_lo:[0,1] neg_hi:[0,1]
	v_pk_add_f16 v1, v1, v2
	s_delay_alu instid0(VALU_DEP_1) | instskip(SKIP_1) | instid1(VALU_DEP_2)
	v_bfi_b32 v2, 0xffff, v11, v1
	v_bfi_b32 v1, 0xffff, v1, v11
	v_pk_mul_f16 v2, v2, 0.5 op_sel_hi:[1,0]
	s_delay_alu instid0(VALU_DEP_2) | instskip(SKIP_1) | instid1(VALU_DEP_2)
	v_pk_mul_f16 v1, v1, 0.5 op_sel_hi:[1,0]
	s_wait_loadcnt 0x5
	v_pk_mul_f16 v13, v18, v2 op_sel_hi:[0,1]
	s_delay_alu instid0(VALU_DEP_2) | instskip(SKIP_2) | instid1(VALU_DEP_3)
	v_pk_fma_f16 v11, v18, v2, v1 op_sel:[1,0,0]
	v_pk_fma_f16 v14, v18, v2, v1 op_sel:[1,0,0] neg_lo:[1,0,0] neg_hi:[1,0,0]
	v_pk_fma_f16 v1, v18, v2, v1 op_sel:[1,0,0] neg_lo:[0,0,1] neg_hi:[0,0,1]
	v_pk_add_f16 v2, v11, v13 op_sel:[0,1] op_sel_hi:[1,0]
	v_pk_add_f16 v18, v11, v13 op_sel:[0,1] op_sel_hi:[1,0] neg_lo:[0,1] neg_hi:[0,1]
	v_mov_b32_e32 v11, v3
	v_pk_add_f16 v14, v14, v13 op_sel:[0,1] op_sel_hi:[1,0] neg_lo:[0,1] neg_hi:[0,1]
	v_pk_add_f16 v1, v1, v13 op_sel:[0,1] op_sel_hi:[1,0] neg_lo:[0,1] neg_hi:[0,1]
	s_delay_alu instid0(VALU_DEP_4) | instskip(NEXT) | instid1(VALU_DEP_2)
	v_bfi_b32 v13, 0xffff, v2, v18
	v_bfi_b32 v14, 0xffff, v14, v1
	v_lshlrev_b64_e32 v[1:2], 2, v[10:11]
	ds_store_b32 v5, v13
	ds_store_b32 v20, v14 offset:4928
	ds_load_b32 v5, v59
	ds_load_b32 v10, v20 offset:4704
	v_add_co_u32 v1, s1, s4, v1
	s_wait_alu 0xf1ff
	v_add_co_ci_u32_e64 v2, s1, s5, v2, s1
	global_load_b32 v11, v[1:2], off offset:5592
	s_wait_dscnt 0x0
	v_pk_add_f16 v1, v5, v10 neg_lo:[0,1] neg_hi:[0,1]
	v_pk_add_f16 v2, v5, v10
	s_delay_alu instid0(VALU_DEP_1) | instskip(SKIP_1) | instid1(VALU_DEP_2)
	v_bfi_b32 v5, 0xffff, v1, v2
	v_bfi_b32 v1, 0xffff, v2, v1
	v_pk_mul_f16 v2, v5, 0.5 op_sel_hi:[1,0]
	s_delay_alu instid0(VALU_DEP_2) | instskip(SKIP_1) | instid1(VALU_DEP_2)
	v_pk_mul_f16 v1, v1, 0.5 op_sel_hi:[1,0]
	s_wait_loadcnt 0x5
	v_pk_mul_f16 v10, v17, v2 op_sel_hi:[0,1]
	s_delay_alu instid0(VALU_DEP_2) | instskip(SKIP_2) | instid1(VALU_DEP_3)
	v_pk_fma_f16 v5, v17, v2, v1 op_sel:[1,0,0]
	v_pk_fma_f16 v13, v17, v2, v1 op_sel:[1,0,0] neg_lo:[1,0,0] neg_hi:[1,0,0]
	v_pk_fma_f16 v1, v17, v2, v1 op_sel:[1,0,0] neg_lo:[0,0,1] neg_hi:[0,0,1]
	v_pk_add_f16 v2, v5, v10 op_sel:[0,1] op_sel_hi:[1,0]
	v_pk_add_f16 v5, v5, v10 op_sel:[0,1] op_sel_hi:[1,0] neg_lo:[0,1] neg_hi:[0,1]
	s_delay_alu instid0(VALU_DEP_4) | instskip(NEXT) | instid1(VALU_DEP_4)
	v_pk_add_f16 v13, v13, v10 op_sel:[0,1] op_sel_hi:[1,0] neg_lo:[0,1] neg_hi:[0,1]
	v_pk_add_f16 v1, v1, v10 op_sel:[0,1] op_sel_hi:[1,0] neg_lo:[0,1] neg_hi:[0,1]
	v_mov_b32_e32 v10, v3
	s_delay_alu instid0(VALU_DEP_4) | instskip(NEXT) | instid1(VALU_DEP_3)
	v_bfi_b32 v5, 0xffff, v2, v5
	v_bfi_b32 v13, 0xffff, v13, v1
	s_delay_alu instid0(VALU_DEP_3)
	v_lshlrev_b64_e32 v[1:2], 2, v[9:10]
	ds_store_b32 v59, v5
	ds_store_b32 v20, v13 offset:4704
	ds_load_b32 v5, v58
	ds_load_b32 v9, v20 offset:4480
	v_add_co_u32 v1, s1, s4, v1
	s_wait_alu 0xf1ff
	v_add_co_ci_u32_e64 v2, s1, s5, v2, s1
	global_load_b32 v10, v[1:2], off offset:5592
	s_wait_dscnt 0x0
	v_pk_add_f16 v1, v5, v9 neg_lo:[0,1] neg_hi:[0,1]
	v_pk_add_f16 v2, v5, v9
	s_delay_alu instid0(VALU_DEP_1) | instskip(SKIP_1) | instid1(VALU_DEP_2)
	v_bfi_b32 v5, 0xffff, v1, v2
	v_bfi_b32 v1, 0xffff, v2, v1
	v_pk_mul_f16 v2, v5, 0.5 op_sel_hi:[1,0]
	s_delay_alu instid0(VALU_DEP_2) | instskip(SKIP_1) | instid1(VALU_DEP_2)
	v_pk_mul_f16 v1, v1, 0.5 op_sel_hi:[1,0]
	s_wait_loadcnt 0x5
	v_pk_mul_f16 v9, v16, v2 op_sel_hi:[0,1]
	s_delay_alu instid0(VALU_DEP_2) | instskip(SKIP_2) | instid1(VALU_DEP_3)
	v_pk_fma_f16 v5, v16, v2, v1 op_sel:[1,0,0]
	v_pk_fma_f16 v13, v16, v2, v1 op_sel:[1,0,0] neg_lo:[1,0,0] neg_hi:[1,0,0]
	v_pk_fma_f16 v1, v16, v2, v1 op_sel:[1,0,0] neg_lo:[0,0,1] neg_hi:[0,0,1]
	v_pk_add_f16 v2, v5, v9 op_sel:[0,1] op_sel_hi:[1,0]
	v_pk_add_f16 v5, v5, v9 op_sel:[0,1] op_sel_hi:[1,0] neg_lo:[0,1] neg_hi:[0,1]
	s_delay_alu instid0(VALU_DEP_4) | instskip(NEXT) | instid1(VALU_DEP_4)
	v_pk_add_f16 v13, v13, v9 op_sel:[0,1] op_sel_hi:[1,0] neg_lo:[0,1] neg_hi:[0,1]
	v_pk_add_f16 v1, v1, v9 op_sel:[0,1] op_sel_hi:[1,0] neg_lo:[0,1] neg_hi:[0,1]
	v_mov_b32_e32 v9, v3
	s_delay_alu instid0(VALU_DEP_4) | instskip(NEXT) | instid1(VALU_DEP_3)
	v_bfi_b32 v5, 0xffff, v2, v5
	v_bfi_b32 v13, 0xffff, v13, v1
	s_delay_alu instid0(VALU_DEP_3)
	v_lshlrev_b64_e32 v[1:2], 2, v[8:9]
	ds_store_b32 v58, v5
	ds_store_b32 v20, v13 offset:4480
	ds_load_b32 v5, v57
	ds_load_b32 v8, v20 offset:4256
	v_add_co_u32 v1, s1, s4, v1
	s_wait_alu 0xf1ff
	v_add_co_ci_u32_e64 v2, s1, s5, v2, s1
	global_load_b32 v1, v[1:2], off offset:5592
	s_wait_dscnt 0x0
	v_pk_add_f16 v2, v5, v8 neg_lo:[0,1] neg_hi:[0,1]
	v_pk_add_f16 v5, v5, v8
	s_delay_alu instid0(VALU_DEP_1) | instskip(SKIP_1) | instid1(VALU_DEP_2)
	v_bfi_b32 v8, 0xffff, v2, v5
	v_bfi_b32 v2, 0xffff, v5, v2
	v_pk_mul_f16 v5, v8, 0.5 op_sel_hi:[1,0]
	s_delay_alu instid0(VALU_DEP_2) | instskip(SKIP_1) | instid1(VALU_DEP_2)
	v_pk_mul_f16 v2, v2, 0.5 op_sel_hi:[1,0]
	s_wait_loadcnt 0x5
	v_pk_mul_f16 v9, v23, v5 op_sel_hi:[0,1]
	s_delay_alu instid0(VALU_DEP_2) | instskip(SKIP_2) | instid1(VALU_DEP_3)
	v_pk_fma_f16 v8, v23, v5, v2 op_sel:[1,0,0]
	v_pk_fma_f16 v13, v23, v5, v2 op_sel:[1,0,0] neg_lo:[1,0,0] neg_hi:[1,0,0]
	v_pk_fma_f16 v2, v23, v5, v2 op_sel:[1,0,0] neg_lo:[0,0,1] neg_hi:[0,0,1]
	v_pk_add_f16 v5, v8, v9 op_sel:[0,1] op_sel_hi:[1,0]
	v_pk_add_f16 v8, v8, v9 op_sel:[0,1] op_sel_hi:[1,0] neg_lo:[0,1] neg_hi:[0,1]
	s_delay_alu instid0(VALU_DEP_4) | instskip(NEXT) | instid1(VALU_DEP_4)
	v_pk_add_f16 v13, v13, v9 op_sel:[0,1] op_sel_hi:[1,0] neg_lo:[0,1] neg_hi:[0,1]
	v_pk_add_f16 v2, v2, v9 op_sel:[0,1] op_sel_hi:[1,0] neg_lo:[0,1] neg_hi:[0,1]
	s_delay_alu instid0(VALU_DEP_3) | instskip(NEXT) | instid1(VALU_DEP_2)
	v_bfi_b32 v5, 0xffff, v5, v8
	v_bfi_b32 v2, 0xffff, v13, v2
	ds_store_b32 v57, v5
	ds_store_b32 v20, v2 offset:4256
	ds_load_b32 v2, v56
	ds_load_b32 v5, v20 offset:4032
	s_wait_dscnt 0x0
	v_pk_add_f16 v8, v2, v5 neg_lo:[0,1] neg_hi:[0,1]
	v_pk_add_f16 v2, v2, v5
	s_delay_alu instid0(VALU_DEP_1) | instskip(SKIP_1) | instid1(VALU_DEP_2)
	v_bfi_b32 v5, 0xffff, v8, v2
	v_bfi_b32 v2, 0xffff, v2, v8
	v_pk_mul_f16 v5, v5, 0.5 op_sel_hi:[1,0]
	s_delay_alu instid0(VALU_DEP_2) | instskip(SKIP_1) | instid1(VALU_DEP_2)
	v_pk_mul_f16 v2, v2, 0.5 op_sel_hi:[1,0]
	s_wait_loadcnt 0x4
	v_pk_mul_f16 v9, v15, v5 op_sel_hi:[0,1]
	s_delay_alu instid0(VALU_DEP_2) | instskip(SKIP_2) | instid1(VALU_DEP_3)
	v_pk_fma_f16 v8, v15, v5, v2 op_sel:[1,0,0]
	v_pk_fma_f16 v13, v15, v5, v2 op_sel:[1,0,0] neg_lo:[1,0,0] neg_hi:[1,0,0]
	v_pk_fma_f16 v2, v15, v5, v2 op_sel:[1,0,0] neg_lo:[0,0,1] neg_hi:[0,0,1]
	v_pk_add_f16 v5, v8, v9 op_sel:[0,1] op_sel_hi:[1,0]
	v_pk_add_f16 v8, v8, v9 op_sel:[0,1] op_sel_hi:[1,0] neg_lo:[0,1] neg_hi:[0,1]
	s_delay_alu instid0(VALU_DEP_4) | instskip(NEXT) | instid1(VALU_DEP_4)
	v_pk_add_f16 v13, v13, v9 op_sel:[0,1] op_sel_hi:[1,0] neg_lo:[0,1] neg_hi:[0,1]
	v_pk_add_f16 v2, v2, v9 op_sel:[0,1] op_sel_hi:[1,0] neg_lo:[0,1] neg_hi:[0,1]
	s_delay_alu instid0(VALU_DEP_3) | instskip(NEXT) | instid1(VALU_DEP_2)
	v_bfi_b32 v5, 0xffff, v5, v8
	v_bfi_b32 v2, 0xffff, v13, v2
	ds_store_b32 v56, v5
	ds_store_b32 v20, v2 offset:4032
	ds_load_b32 v2, v55
	ds_load_b32 v5, v20 offset:3808
	;; [unrolled: 27-line block ×3, first 2 shown]
	s_wait_dscnt 0x0
	v_pk_add_f16 v8, v2, v5 neg_lo:[0,1] neg_hi:[0,1]
	v_pk_add_f16 v2, v2, v5
	s_delay_alu instid0(VALU_DEP_1) | instskip(SKIP_1) | instid1(VALU_DEP_2)
	v_bfi_b32 v5, 0xffff, v8, v2
	v_bfi_b32 v2, 0xffff, v2, v8
	v_pk_mul_f16 v5, v5, 0.5 op_sel_hi:[1,0]
	s_delay_alu instid0(VALU_DEP_2) | instskip(SKIP_1) | instid1(VALU_DEP_1)
	v_pk_mul_f16 v2, v2, 0.5 op_sel_hi:[1,0]
	s_wait_loadcnt 0x2
	v_pk_fma_f16 v8, v11, v5, v2 op_sel:[1,0,0]
	v_pk_mul_f16 v9, v11, v5 op_sel_hi:[0,1]
	v_pk_fma_f16 v12, v11, v5, v2 op_sel:[1,0,0] neg_lo:[1,0,0] neg_hi:[1,0,0]
	v_pk_fma_f16 v2, v11, v5, v2 op_sel:[1,0,0] neg_lo:[0,0,1] neg_hi:[0,0,1]
	s_delay_alu instid0(VALU_DEP_3) | instskip(SKIP_1) | instid1(VALU_DEP_4)
	v_pk_add_f16 v5, v8, v9 op_sel:[0,1] op_sel_hi:[1,0]
	v_pk_add_f16 v8, v8, v9 op_sel:[0,1] op_sel_hi:[1,0] neg_lo:[0,1] neg_hi:[0,1]
	v_pk_add_f16 v11, v12, v9 op_sel:[0,1] op_sel_hi:[1,0] neg_lo:[0,1] neg_hi:[0,1]
	s_delay_alu instid0(VALU_DEP_4) | instskip(NEXT) | instid1(VALU_DEP_3)
	v_pk_add_f16 v2, v2, v9 op_sel:[0,1] op_sel_hi:[1,0] neg_lo:[0,1] neg_hi:[0,1]
	v_bfi_b32 v5, 0xffff, v5, v8
	s_delay_alu instid0(VALU_DEP_2)
	v_bfi_b32 v2, 0xffff, v11, v2
	ds_store_b32 v54, v5
	ds_store_b32 v20, v2 offset:3584
	ds_load_b32 v2, v53
	ds_load_b32 v5, v20 offset:3360
	s_wait_dscnt 0x0
	v_pk_add_f16 v8, v2, v5 neg_lo:[0,1] neg_hi:[0,1]
	v_pk_add_f16 v2, v2, v5
	s_delay_alu instid0(VALU_DEP_1) | instskip(SKIP_1) | instid1(VALU_DEP_2)
	v_bfi_b32 v5, 0xffff, v8, v2
	v_bfi_b32 v2, 0xffff, v2, v8
	v_pk_mul_f16 v5, v5, 0.5 op_sel_hi:[1,0]
	s_delay_alu instid0(VALU_DEP_2) | instskip(SKIP_1) | instid1(VALU_DEP_2)
	v_pk_mul_f16 v2, v2, 0.5 op_sel_hi:[1,0]
	s_wait_loadcnt 0x1
	v_pk_mul_f16 v9, v10, v5 op_sel_hi:[0,1]
	s_delay_alu instid0(VALU_DEP_2) | instskip(SKIP_2) | instid1(VALU_DEP_3)
	v_pk_fma_f16 v8, v10, v5, v2 op_sel:[1,0,0]
	v_pk_fma_f16 v11, v10, v5, v2 op_sel:[1,0,0] neg_lo:[1,0,0] neg_hi:[1,0,0]
	v_pk_fma_f16 v2, v10, v5, v2 op_sel:[1,0,0] neg_lo:[0,0,1] neg_hi:[0,0,1]
	v_pk_add_f16 v5, v8, v9 op_sel:[0,1] op_sel_hi:[1,0]
	v_pk_add_f16 v8, v8, v9 op_sel:[0,1] op_sel_hi:[1,0] neg_lo:[0,1] neg_hi:[0,1]
	s_delay_alu instid0(VALU_DEP_4) | instskip(NEXT) | instid1(VALU_DEP_4)
	v_pk_add_f16 v10, v11, v9 op_sel:[0,1] op_sel_hi:[1,0] neg_lo:[0,1] neg_hi:[0,1]
	v_pk_add_f16 v2, v2, v9 op_sel:[0,1] op_sel_hi:[1,0] neg_lo:[0,1] neg_hi:[0,1]
	s_delay_alu instid0(VALU_DEP_3) | instskip(NEXT) | instid1(VALU_DEP_2)
	v_bfi_b32 v5, 0xffff, v5, v8
	v_bfi_b32 v2, 0xffff, v10, v2
	ds_store_b32 v53, v5
	ds_store_b32 v20, v2 offset:3360
	ds_load_b32 v2, v52
	ds_load_b32 v5, v20 offset:3136
	s_wait_dscnt 0x0
	v_pk_add_f16 v8, v2, v5 neg_lo:[0,1] neg_hi:[0,1]
	v_pk_add_f16 v2, v2, v5
	s_delay_alu instid0(VALU_DEP_1) | instskip(SKIP_1) | instid1(VALU_DEP_2)
	v_bfi_b32 v5, 0xffff, v8, v2
	v_bfi_b32 v2, 0xffff, v2, v8
	v_pk_mul_f16 v5, v5, 0.5 op_sel_hi:[1,0]
	s_delay_alu instid0(VALU_DEP_2) | instskip(SKIP_1) | instid1(VALU_DEP_2)
	v_pk_mul_f16 v2, v2, 0.5 op_sel_hi:[1,0]
	s_wait_loadcnt 0x0
	v_pk_mul_f16 v9, v1, v5 op_sel_hi:[0,1]
	s_delay_alu instid0(VALU_DEP_2) | instskip(SKIP_2) | instid1(VALU_DEP_3)
	v_pk_fma_f16 v8, v1, v5, v2 op_sel:[1,0,0]
	v_pk_fma_f16 v10, v1, v5, v2 op_sel:[1,0,0] neg_lo:[1,0,0] neg_hi:[1,0,0]
	v_pk_fma_f16 v1, v1, v5, v2 op_sel:[1,0,0] neg_lo:[0,0,1] neg_hi:[0,0,1]
	v_pk_add_f16 v2, v8, v9 op_sel:[0,1] op_sel_hi:[1,0]
	v_pk_add_f16 v5, v8, v9 op_sel:[0,1] op_sel_hi:[1,0] neg_lo:[0,1] neg_hi:[0,1]
	s_delay_alu instid0(VALU_DEP_4) | instskip(NEXT) | instid1(VALU_DEP_4)
	v_pk_add_f16 v8, v10, v9 op_sel:[0,1] op_sel_hi:[1,0] neg_lo:[0,1] neg_hi:[0,1]
	v_pk_add_f16 v1, v1, v9 op_sel:[0,1] op_sel_hi:[1,0] neg_lo:[0,1] neg_hi:[0,1]
	s_delay_alu instid0(VALU_DEP_3) | instskip(NEXT) | instid1(VALU_DEP_2)
	v_bfi_b32 v2, 0xffff, v2, v5
	v_bfi_b32 v1, 0xffff, v8, v1
	ds_store_b32 v52, v2
	ds_store_b32 v20, v1 offset:3136
	s_and_saveexec_b32 s1, s0
	s_cbranch_execz .LBB0_33
; %bb.32:
	v_mov_b32_e32 v5, v3
	s_delay_alu instid0(VALU_DEP_1) | instskip(NEXT) | instid1(VALU_DEP_1)
	v_lshlrev_b64_e32 v[1:2], 2, v[4:5]
	v_add_co_u32 v1, s0, s4, v1
	s_wait_alu 0xf1ff
	s_delay_alu instid0(VALU_DEP_2)
	v_add_co_ci_u32_e64 v2, s0, s5, v2, s0
	global_load_b32 v1, v[1:2], off offset:5592
	ds_load_b32 v2, v49
	ds_load_b32 v3, v20 offset:2912
	s_wait_dscnt 0x0
	v_pk_add_f16 v4, v2, v3 neg_lo:[0,1] neg_hi:[0,1]
	v_pk_add_f16 v2, v2, v3
	s_delay_alu instid0(VALU_DEP_1) | instskip(SKIP_1) | instid1(VALU_DEP_2)
	v_bfi_b32 v3, 0xffff, v4, v2
	v_bfi_b32 v2, 0xffff, v2, v4
	v_pk_mul_f16 v3, v3, 0.5 op_sel_hi:[1,0]
	s_delay_alu instid0(VALU_DEP_2) | instskip(SKIP_1) | instid1(VALU_DEP_1)
	v_pk_mul_f16 v2, v2, 0.5 op_sel_hi:[1,0]
	s_wait_loadcnt 0x0
	v_pk_fma_f16 v4, v1, v3, v2 op_sel:[1,0,0]
	v_pk_mul_f16 v5, v1, v3 op_sel_hi:[0,1]
	v_pk_fma_f16 v8, v1, v3, v2 op_sel:[1,0,0] neg_lo:[1,0,0] neg_hi:[1,0,0]
	v_pk_fma_f16 v1, v1, v3, v2 op_sel:[1,0,0] neg_lo:[0,0,1] neg_hi:[0,0,1]
	s_delay_alu instid0(VALU_DEP_3) | instskip(SKIP_1) | instid1(VALU_DEP_4)
	v_pk_add_f16 v2, v4, v5 op_sel:[0,1] op_sel_hi:[1,0]
	v_pk_add_f16 v3, v4, v5 op_sel:[0,1] op_sel_hi:[1,0] neg_lo:[0,1] neg_hi:[0,1]
	v_pk_add_f16 v4, v8, v5 op_sel:[0,1] op_sel_hi:[1,0] neg_lo:[0,1] neg_hi:[0,1]
	s_delay_alu instid0(VALU_DEP_4) | instskip(NEXT) | instid1(VALU_DEP_3)
	v_pk_add_f16 v1, v1, v5 op_sel:[0,1] op_sel_hi:[1,0] neg_lo:[0,1] neg_hi:[0,1]
	v_bfi_b32 v2, 0xffff, v2, v3
	s_delay_alu instid0(VALU_DEP_2)
	v_bfi_b32 v1, 0xffff, v4, v1
	ds_store_b32 v49, v2
	ds_store_b32 v20, v1 offset:2912
.LBB0_33:
	s_wait_alu 0xfffe
	s_or_b32 exec_lo, exec_lo, s1
	global_wb scope:SCOPE_SE
	s_wait_dscnt 0x0
	s_barrier_signal -1
	s_barrier_wait -1
	global_inv scope:SCOPE_SE
	s_and_saveexec_b32 s0, vcc_lo
	s_cbranch_execz .LBB0_36
; %bb.34:
	v_add_nc_u32_e32 v14, 0x400, v48
	v_add_nc_u32_e32 v18, 0x800, v48
	v_dual_mov_b32 v1, 0 :: v_dual_add_nc_u32 v22, 0xc00, v48
	v_add_nc_u32_e32 v10, 0x200, v48
	v_add_nc_u32_e32 v24, 0xe00, v48
	;; [unrolled: 1-line block ×4, first 2 shown]
	ds_load_2addr_b32 v[4:5], v48 offset1:56
	ds_load_2addr_b32 v[8:9], v48 offset0:112 offset1:168
	ds_load_2addr_b32 v[10:11], v10 offset0:96 offset1:152
	;; [unrolled: 1-line block ×11, first 2 shown]
	ds_load_b32 v30, v48 offset:5376
	v_add_co_u32 v2, vcc_lo, s8, v6
	s_wait_alu 0xfffd
	v_add_co_ci_u32_e32 v3, vcc_lo, s9, v7, vcc_lo
	v_lshlrev_b64_e32 v[6:7], 2, v[0:1]
	s_delay_alu instid0(VALU_DEP_1) | instskip(SKIP_1) | instid1(VALU_DEP_2)
	v_add_co_u32 v6, vcc_lo, v2, v6
	s_wait_alu 0xfffd
	v_add_co_ci_u32_e32 v7, vcc_lo, v3, v7, vcc_lo
	v_cmp_eq_u32_e32 vcc_lo, 55, v0
	s_wait_dscnt 0xc
	s_clause 0x1
	global_store_b32 v[6:7], v4, off
	global_store_b32 v[6:7], v5, off offset:224
	s_wait_dscnt 0xb
	s_clause 0x1
	global_store_b32 v[6:7], v8, off offset:448
	global_store_b32 v[6:7], v9, off offset:672
	s_wait_dscnt 0xa
	s_clause 0x1
	global_store_b32 v[6:7], v10, off offset:896
	;; [unrolled: 4-line block ×11, first 2 shown]
	global_store_b32 v[6:7], v29, off offset:5152
	s_wait_dscnt 0x0
	global_store_b32 v[6:7], v30, off offset:5376
	s_and_b32 exec_lo, exec_lo, vcc_lo
	s_cbranch_execz .LBB0_36
; %bb.35:
	ds_load_b32 v0, v1 offset:5600
	s_wait_dscnt 0x0
	global_store_b32 v[2:3], v0, off offset:5600
.LBB0_36:
	s_nop 0
	s_sendmsg sendmsg(MSG_DEALLOC_VGPRS)
	s_endpgm
	.section	.rodata,"a",@progbits
	.p2align	6, 0x0
	.amdhsa_kernel fft_rtc_fwd_len1400_factors_2_2_2_5_7_5_wgs_56_tpt_56_halfLds_half_ip_CI_unitstride_sbrr_R2C_dirReg
		.amdhsa_group_segment_fixed_size 0
		.amdhsa_private_segment_fixed_size 0
		.amdhsa_kernarg_size 88
		.amdhsa_user_sgpr_count 2
		.amdhsa_user_sgpr_dispatch_ptr 0
		.amdhsa_user_sgpr_queue_ptr 0
		.amdhsa_user_sgpr_kernarg_segment_ptr 1
		.amdhsa_user_sgpr_dispatch_id 0
		.amdhsa_user_sgpr_private_segment_size 0
		.amdhsa_wavefront_size32 1
		.amdhsa_uses_dynamic_stack 0
		.amdhsa_enable_private_segment 0
		.amdhsa_system_sgpr_workgroup_id_x 1
		.amdhsa_system_sgpr_workgroup_id_y 0
		.amdhsa_system_sgpr_workgroup_id_z 0
		.amdhsa_system_sgpr_workgroup_info 0
		.amdhsa_system_vgpr_workitem_id 0
		.amdhsa_next_free_vgpr 152
		.amdhsa_next_free_sgpr 32
		.amdhsa_reserve_vcc 1
		.amdhsa_float_round_mode_32 0
		.amdhsa_float_round_mode_16_64 0
		.amdhsa_float_denorm_mode_32 3
		.amdhsa_float_denorm_mode_16_64 3
		.amdhsa_fp16_overflow 0
		.amdhsa_workgroup_processor_mode 1
		.amdhsa_memory_ordered 1
		.amdhsa_forward_progress 0
		.amdhsa_round_robin_scheduling 0
		.amdhsa_exception_fp_ieee_invalid_op 0
		.amdhsa_exception_fp_denorm_src 0
		.amdhsa_exception_fp_ieee_div_zero 0
		.amdhsa_exception_fp_ieee_overflow 0
		.amdhsa_exception_fp_ieee_underflow 0
		.amdhsa_exception_fp_ieee_inexact 0
		.amdhsa_exception_int_div_zero 0
	.end_amdhsa_kernel
	.text
.Lfunc_end0:
	.size	fft_rtc_fwd_len1400_factors_2_2_2_5_7_5_wgs_56_tpt_56_halfLds_half_ip_CI_unitstride_sbrr_R2C_dirReg, .Lfunc_end0-fft_rtc_fwd_len1400_factors_2_2_2_5_7_5_wgs_56_tpt_56_halfLds_half_ip_CI_unitstride_sbrr_R2C_dirReg
                                        ; -- End function
	.section	.AMDGPU.csdata,"",@progbits
; Kernel info:
; codeLenInByte = 19692
; NumSgprs: 34
; NumVgprs: 152
; ScratchSize: 0
; MemoryBound: 0
; FloatMode: 240
; IeeeMode: 1
; LDSByteSize: 0 bytes/workgroup (compile time only)
; SGPRBlocks: 4
; VGPRBlocks: 18
; NumSGPRsForWavesPerEU: 34
; NumVGPRsForWavesPerEU: 152
; Occupancy: 9
; WaveLimiterHint : 1
; COMPUTE_PGM_RSRC2:SCRATCH_EN: 0
; COMPUTE_PGM_RSRC2:USER_SGPR: 2
; COMPUTE_PGM_RSRC2:TRAP_HANDLER: 0
; COMPUTE_PGM_RSRC2:TGID_X_EN: 1
; COMPUTE_PGM_RSRC2:TGID_Y_EN: 0
; COMPUTE_PGM_RSRC2:TGID_Z_EN: 0
; COMPUTE_PGM_RSRC2:TIDIG_COMP_CNT: 0
	.text
	.p2alignl 7, 3214868480
	.fill 96, 4, 3214868480
	.type	__hip_cuid_9c4eb93ae0ca54a5,@object ; @__hip_cuid_9c4eb93ae0ca54a5
	.section	.bss,"aw",@nobits
	.globl	__hip_cuid_9c4eb93ae0ca54a5
__hip_cuid_9c4eb93ae0ca54a5:
	.byte	0                               ; 0x0
	.size	__hip_cuid_9c4eb93ae0ca54a5, 1

	.ident	"AMD clang version 19.0.0git (https://github.com/RadeonOpenCompute/llvm-project roc-6.4.0 25133 c7fe45cf4b819c5991fe208aaa96edf142730f1d)"
	.section	".note.GNU-stack","",@progbits
	.addrsig
	.addrsig_sym __hip_cuid_9c4eb93ae0ca54a5
	.amdgpu_metadata
---
amdhsa.kernels:
  - .args:
      - .actual_access:  read_only
        .address_space:  global
        .offset:         0
        .size:           8
        .value_kind:     global_buffer
      - .offset:         8
        .size:           8
        .value_kind:     by_value
      - .actual_access:  read_only
        .address_space:  global
        .offset:         16
        .size:           8
        .value_kind:     global_buffer
      - .actual_access:  read_only
        .address_space:  global
        .offset:         24
        .size:           8
        .value_kind:     global_buffer
      - .offset:         32
        .size:           8
        .value_kind:     by_value
      - .actual_access:  read_only
        .address_space:  global
        .offset:         40
        .size:           8
        .value_kind:     global_buffer
      - .actual_access:  read_only
        .address_space:  global
        .offset:         48
        .size:           8
        .value_kind:     global_buffer
      - .offset:         56
        .size:           4
        .value_kind:     by_value
      - .actual_access:  read_only
        .address_space:  global
        .offset:         64
        .size:           8
        .value_kind:     global_buffer
      - .actual_access:  read_only
        .address_space:  global
        .offset:         72
        .size:           8
        .value_kind:     global_buffer
      - .address_space:  global
        .offset:         80
        .size:           8
        .value_kind:     global_buffer
    .group_segment_fixed_size: 0
    .kernarg_segment_align: 8
    .kernarg_segment_size: 88
    .language:       OpenCL C
    .language_version:
      - 2
      - 0
    .max_flat_workgroup_size: 56
    .name:           fft_rtc_fwd_len1400_factors_2_2_2_5_7_5_wgs_56_tpt_56_halfLds_half_ip_CI_unitstride_sbrr_R2C_dirReg
    .private_segment_fixed_size: 0
    .sgpr_count:     34
    .sgpr_spill_count: 0
    .symbol:         fft_rtc_fwd_len1400_factors_2_2_2_5_7_5_wgs_56_tpt_56_halfLds_half_ip_CI_unitstride_sbrr_R2C_dirReg.kd
    .uniform_work_group_size: 1
    .uses_dynamic_stack: false
    .vgpr_count:     152
    .vgpr_spill_count: 0
    .wavefront_size: 32
    .workgroup_processor_mode: 1
amdhsa.target:   amdgcn-amd-amdhsa--gfx1201
amdhsa.version:
  - 1
  - 2
...

	.end_amdgpu_metadata
